;; amdgpu-corpus repo=ROCm/rocFFT kind=compiled arch=gfx906 opt=O3
	.text
	.amdgcn_target "amdgcn-amd-amdhsa--gfx906"
	.amdhsa_code_object_version 6
	.protected	bluestein_single_fwd_len1430_dim1_half_op_CI_CI ; -- Begin function bluestein_single_fwd_len1430_dim1_half_op_CI_CI
	.globl	bluestein_single_fwd_len1430_dim1_half_op_CI_CI
	.p2align	8
	.type	bluestein_single_fwd_len1430_dim1_half_op_CI_CI,@function
bluestein_single_fwd_len1430_dim1_half_op_CI_CI: ; @bluestein_single_fwd_len1430_dim1_half_op_CI_CI
; %bb.0:
	s_load_dwordx4 s[0:3], s[4:5], 0x28
	v_mul_u32_u24_e32 v1, 0x1cb, v0
	v_add_u32_sdwa v16, s6, v1 dst_sel:DWORD dst_unused:UNUSED_PAD src0_sel:DWORD src1_sel:WORD_1
	v_mov_b32_e32 v17, 0
	s_waitcnt lgkmcnt(0)
	v_cmp_gt_u64_e32 vcc, s[0:1], v[16:17]
	s_and_saveexec_b64 s[0:1], vcc
	s_cbranch_execz .LBB0_23
; %bb.1:
	s_load_dwordx2 s[6:7], s[4:5], 0x0
	s_load_dwordx2 s[12:13], s[4:5], 0x38
	s_movk_i32 s0, 0x8f
	v_mul_lo_u16_sdwa v1, v1, s0 dst_sel:DWORD dst_unused:UNUSED_PAD src0_sel:WORD_1 src1_sel:DWORD
	v_sub_u16_e32 v34, v0, v1
	s_movk_i32 s0, 0x6e
	v_cmp_gt_u16_e64 s[0:1], s0, v34
	v_lshlrev_b32_e32 v33, 2, v34
	s_and_saveexec_b64 s[14:15], s[0:1]
	s_cbranch_execz .LBB0_3
; %bb.2:
	s_load_dwordx2 s[8:9], s[4:5], 0x18
	s_waitcnt lgkmcnt(0)
	s_load_dwordx4 s[8:11], s[8:9], 0x0
	s_waitcnt lgkmcnt(0)
	v_mad_u64_u32 v[0:1], s[16:17], s10, v16, 0
	v_mad_u64_u32 v[2:3], s[16:17], s8, v34, 0
	;; [unrolled: 1-line block ×4, first 2 shown]
	v_mov_b32_e32 v1, v4
	v_lshlrev_b64 v[0:1], 2, v[0:1]
	v_mov_b32_e32 v3, v5
	v_mov_b32_e32 v6, s3
	v_lshlrev_b64 v[2:3], 2, v[2:3]
	v_add_co_u32_e32 v0, vcc, s2, v0
	v_addc_co_u32_e32 v1, vcc, v6, v1, vcc
	v_add_co_u32_e32 v0, vcc, v0, v2
	v_addc_co_u32_e32 v1, vcc, v1, v3, vcc
	global_load_dword v4, v[0:1], off
	global_load_dword v5, v33, s[6:7]
	s_mul_i32 s2, s9, 0x1b8
	s_mul_hi_u32 s3, s8, 0x1b8
	s_mulk_i32 s8, 0x1b8
	s_add_i32 s2, s3, s2
	v_mov_b32_e32 v3, s2
	v_add_co_u32_e32 v0, vcc, s8, v0
	v_addc_co_u32_e32 v1, vcc, v1, v3, vcc
	global_load_dword v6, v33, s[6:7] offset:440
	global_load_dword v7, v33, s[6:7] offset:880
	global_load_dword v8, v33, s[6:7] offset:1320
	global_load_dword v9, v33, s[6:7] offset:1760
	global_load_dword v10, v33, s[6:7] offset:2200
	global_load_dword v11, v33, s[6:7] offset:2640
	global_load_dword v12, v33, s[6:7] offset:3080
	global_load_dword v13, v33, s[6:7] offset:3520
	global_load_dword v14, v33, s[6:7] offset:3960
	v_mov_b32_e32 v15, s2
	global_load_dword v17, v[0:1], off
	v_add_co_u32_e32 v0, vcc, s8, v0
	v_addc_co_u32_e32 v1, vcc, v1, v15, vcc
	v_mov_b32_e32 v2, s7
	v_add_co_u32_e32 v3, vcc, s6, v33
	v_addc_co_u32_e32 v18, vcc, 0, v2, vcc
	global_load_dword v15, v[0:1], off
	v_mov_b32_e32 v2, s2
	v_add_co_u32_e32 v0, vcc, s8, v0
	v_addc_co_u32_e32 v1, vcc, v1, v2, vcc
	global_load_dword v20, v[0:1], off
	;; [unrolled: 4-line block ×3, first 2 shown]
	v_add_co_u32_e32 v0, vcc, s8, v0
	v_addc_co_u32_e32 v1, vcc, v1, v2, vcc
	global_load_dword v25, v[0:1], off
	v_mov_b32_e32 v21, s2
	v_add_co_u32_e32 v0, vcc, s8, v0
	v_addc_co_u32_e32 v1, vcc, v1, v21, vcc
	global_load_dword v21, v[0:1], off
	v_mov_b32_e32 v22, s2
	;; [unrolled: 4-line block ×4, first 2 shown]
	v_add_co_u32_e32 v0, vcc, s8, v0
	v_addc_co_u32_e32 v1, vcc, v1, v24, vcc
	global_load_dword v24, v[0:1], off
	v_add_co_u32_e32 v0, vcc, s8, v0
	v_addc_co_u32_e32 v1, vcc, v1, v2, vcc
	s_movk_i32 s3, 0x1000
	v_add_co_u32_e32 v2, vcc, s3, v3
	global_load_dword v28, v[0:1], off
	v_addc_co_u32_e32 v3, vcc, 0, v18, vcc
	global_load_dword v29, v[2:3], off offset:304
	v_mov_b32_e32 v18, s2
	v_add_co_u32_e32 v0, vcc, s8, v0
	v_addc_co_u32_e32 v1, vcc, v1, v18, vcc
	s_waitcnt vmcnt(21)
	v_lshrrev_b32_e32 v26, 16, v4
	s_waitcnt vmcnt(20)
	v_mul_f16_sdwa v27, v5, v4 dst_sel:DWORD dst_unused:UNUSED_PAD src0_sel:WORD_1 src1_sel:DWORD
	global_load_dword v18, v[0:1], off
	global_load_dword v30, v[2:3], off offset:744
	v_fma_f16 v27, v5, v26, -v27
	v_mul_f16_sdwa v26, v5, v26 dst_sel:DWORD dst_unused:UNUSED_PAD src0_sel:WORD_1 src1_sel:DWORD
	v_fma_f16 v4, v5, v4, v26
	v_mov_b32_e32 v5, s2
	v_add_co_u32_e32 v0, vcc, s8, v0
	v_addc_co_u32_e32 v1, vcc, v1, v5, vcc
	global_load_dword v5, v[0:1], off
	global_load_dword v26, v[2:3], off offset:1184
	s_waitcnt vmcnt(14)
	v_lshrrev_b32_e32 v0, 16, v17
	v_mul_f16_sdwa v1, v6, v17 dst_sel:DWORD dst_unused:UNUSED_PAD src0_sel:WORD_1 src1_sel:DWORD
	v_fma_f16 v1, v6, v0, -v1
	v_mul_f16_sdwa v0, v6, v0 dst_sel:DWORD dst_unused:UNUSED_PAD src0_sel:WORD_1 src1_sel:DWORD
	v_fma_f16 v0, v6, v17, v0
	v_pack_b32_f16 v4, v4, v27
	v_pack_b32_f16 v0, v0, v1
	ds_write2_b32 v33, v4, v0 offset1:110
	v_add_u32_e32 v6, 0x200, v33
	s_waitcnt vmcnt(13)
	v_lshrrev_b32_e32 v2, 16, v15
	v_mul_f16_sdwa v3, v7, v15 dst_sel:DWORD dst_unused:UNUSED_PAD src0_sel:WORD_1 src1_sel:DWORD
	v_fma_f16 v3, v7, v2, -v3
	v_mul_f16_sdwa v2, v7, v2 dst_sel:DWORD dst_unused:UNUSED_PAD src0_sel:WORD_1 src1_sel:DWORD
	v_fma_f16 v2, v7, v15, v2
	s_waitcnt vmcnt(12)
	v_lshrrev_b32_e32 v1, 16, v20
	v_mul_f16_sdwa v0, v8, v20 dst_sel:DWORD dst_unused:UNUSED_PAD src0_sel:WORD_1 src1_sel:DWORD
	v_mul_f16_sdwa v4, v8, v1 dst_sel:DWORD dst_unused:UNUSED_PAD src0_sel:WORD_1 src1_sel:DWORD
	v_fma_f16 v0, v8, v1, -v0
	v_pack_b32_f16 v1, v2, v3
	v_fma_f16 v2, v8, v20, v4
	v_pack_b32_f16 v0, v2, v0
	ds_write2_b32 v6, v1, v0 offset0:92 offset1:202
	s_waitcnt vmcnt(11)
	v_lshrrev_b32_e32 v0, 16, v19
	v_mul_f16_sdwa v1, v9, v0 dst_sel:DWORD dst_unused:UNUSED_PAD src0_sel:WORD_1 src1_sel:DWORD
	v_mul_f16_sdwa v2, v9, v19 dst_sel:DWORD dst_unused:UNUSED_PAD src0_sel:WORD_1 src1_sel:DWORD
	v_fma_f16 v1, v9, v19, v1
	v_fma_f16 v0, v9, v0, -v2
	v_pack_b32_f16 v0, v1, v0
	s_waitcnt vmcnt(10)
	v_lshrrev_b32_e32 v1, 16, v25
	v_mul_f16_sdwa v2, v10, v1 dst_sel:DWORD dst_unused:UNUSED_PAD src0_sel:WORD_1 src1_sel:DWORD
	v_mul_f16_sdwa v3, v10, v25 dst_sel:DWORD dst_unused:UNUSED_PAD src0_sel:WORD_1 src1_sel:DWORD
	v_fma_f16 v2, v10, v25, v2
	v_fma_f16 v1, v10, v1, -v3
	v_pack_b32_f16 v1, v2, v1
	v_add_u32_e32 v2, 0x600, v33
	ds_write2_b32 v2, v0, v1 offset0:56 offset1:166
	s_waitcnt vmcnt(9)
	v_lshrrev_b32_e32 v0, 16, v21
	v_mul_f16_sdwa v1, v11, v0 dst_sel:DWORD dst_unused:UNUSED_PAD src0_sel:WORD_1 src1_sel:DWORD
	v_mul_f16_sdwa v2, v11, v21 dst_sel:DWORD dst_unused:UNUSED_PAD src0_sel:WORD_1 src1_sel:DWORD
	v_fma_f16 v1, v11, v21, v1
	v_fma_f16 v0, v11, v0, -v2
	v_pack_b32_f16 v0, v1, v0
	s_waitcnt vmcnt(8)
	v_lshrrev_b32_e32 v1, 16, v22
	v_mul_f16_sdwa v2, v12, v1 dst_sel:DWORD dst_unused:UNUSED_PAD src0_sel:WORD_1 src1_sel:DWORD
	v_mul_f16_sdwa v3, v12, v22 dst_sel:DWORD dst_unused:UNUSED_PAD src0_sel:WORD_1 src1_sel:DWORD
	v_fma_f16 v2, v12, v22, v2
	v_fma_f16 v1, v12, v1, -v3
	v_pack_b32_f16 v1, v2, v1
	v_add_u32_e32 v2, 0xa00, v33
	;; [unrolled: 16-line block ×3, first 2 shown]
	ds_write2_b32 v2, v0, v1 offset0:112 offset1:222
	s_waitcnt vmcnt(5)
	v_lshrrev_b32_e32 v0, 16, v28
	s_waitcnt vmcnt(4)
	v_mul_f16_sdwa v1, v29, v0 dst_sel:DWORD dst_unused:UNUSED_PAD src0_sel:WORD_1 src1_sel:DWORD
	v_mul_f16_sdwa v2, v29, v28 dst_sel:DWORD dst_unused:UNUSED_PAD src0_sel:WORD_1 src1_sel:DWORD
	v_fma_f16 v1, v29, v28, v1
	v_fma_f16 v0, v29, v0, -v2
	v_pack_b32_f16 v0, v1, v0
	s_waitcnt vmcnt(3)
	v_lshrrev_b32_e32 v1, 16, v18
	s_waitcnt vmcnt(2)
	v_mul_f16_sdwa v2, v30, v1 dst_sel:DWORD dst_unused:UNUSED_PAD src0_sel:WORD_1 src1_sel:DWORD
	v_mul_f16_sdwa v3, v30, v18 dst_sel:DWORD dst_unused:UNUSED_PAD src0_sel:WORD_1 src1_sel:DWORD
	v_fma_f16 v2, v30, v18, v2
	v_fma_f16 v1, v30, v1, -v3
	v_pack_b32_f16 v1, v2, v1
	v_add_u32_e32 v2, 0x1000, v33
	ds_write2_b32 v2, v0, v1 offset0:76 offset1:186
	s_waitcnt vmcnt(1)
	v_lshrrev_b32_e32 v0, 16, v5
	s_waitcnt vmcnt(0)
	v_mul_f16_sdwa v1, v26, v0 dst_sel:DWORD dst_unused:UNUSED_PAD src0_sel:WORD_1 src1_sel:DWORD
	v_mul_f16_sdwa v2, v26, v5 dst_sel:DWORD dst_unused:UNUSED_PAD src0_sel:WORD_1 src1_sel:DWORD
	v_fma_f16 v1, v26, v5, v1
	v_fma_f16 v0, v26, v0, -v2
	v_pack_b32_f16 v0, v1, v0
	ds_write_b32 v33, v0 offset:5280
.LBB0_3:
	s_or_b64 exec, exec, s[14:15]
	v_mov_b32_e32 v0, 0
	s_waitcnt lgkmcnt(0)
	s_barrier
	s_waitcnt lgkmcnt(0)
                                        ; implicit-def: $vgpr3
                                        ; implicit-def: $vgpr6
                                        ; implicit-def: $vgpr9
                                        ; implicit-def: $vgpr4
                                        ; implicit-def: $vgpr11
                                        ; implicit-def: $vgpr14
	s_and_saveexec_b64 s[2:3], s[0:1]
	s_cbranch_execz .LBB0_5
; %bb.4:
	v_add_u32_e32 v2, 0x200, v33
	ds_read2_b32 v[10:11], v2 offset0:92 offset1:202
	v_add_u32_e32 v2, 0x600, v33
	v_add_u32_e32 v4, 0xc00, v33
	ds_read2_b32 v[8:9], v2 offset0:56 offset1:166
	v_add_u32_e32 v2, 0xa00, v33
	ds_read2_b32 v[6:7], v4 offset0:112 offset1:222
	v_add_u32_e32 v4, 0x1000, v33
	ds_read2_b32 v[0:1], v33 offset1:110
	ds_read2_b32 v[2:3], v2 offset0:20 offset1:130
	ds_read2_b32 v[4:5], v4 offset0:76 offset1:186
	ds_read_b32 v14, v33 offset:5280
.LBB0_5:
	s_or_b64 exec, exec, s[2:3]
	s_waitcnt lgkmcnt(3)
	v_pk_add_f16 v13, v1, v0
	s_waitcnt lgkmcnt(1)
	v_pk_add_f16 v15, v5, v10
	v_pk_add_f16 v20, v10, v5 neg_lo:[0,1] neg_hi:[0,1]
	v_pk_add_f16 v10, v10, v13
	s_mov_b32 s10, 0xbbf1
	v_pk_add_f16 v21, v11, v4 neg_lo:[0,1] neg_hi:[0,1]
	v_pk_add_f16 v10, v11, v10
	s_mov_b32 s9, 0xba95
	s_movk_i32 s2, 0x2fb7
	v_pk_add_f16 v18, v4, v11
	v_mul_f16_sdwa v24, v21, s10 dst_sel:DWORD dst_unused:UNUSED_PAD src0_sel:WORD_1 src1_sel:DWORD
	v_pk_add_f16 v19, v7, v8
	v_pk_add_f16 v25, v8, v7 neg_lo:[0,1] neg_hi:[0,1]
	v_pk_add_f16 v8, v8, v10
	s_movk_i32 s3, 0x388b
	v_mul_f16_sdwa v22, v20, s9 dst_sel:DWORD dst_unused:UNUSED_PAD src0_sel:WORD_1 src1_sel:DWORD
	v_lshrrev_b32_e32 v17, 16, v15
	v_pk_add_f16 v26, v9, v8
	v_fma_f16 v8, v18, s2, -v24
	v_mul_f16_e32 v30, 0xba95, v20
	v_fma_f16 v12, v15, s3, -v22
	v_alignbit_b32 v29, v8, v7, 16
	s_mov_b32 s8, 0x5040100
	v_fma_f16 v8, v17, s3, v30
	v_lshrrev_b32_e32 v31, 16, v18
	v_mul_f16_e32 v32, 0xbbf1, v21
	s_mov_b32 s18, 0xbb7b
	v_pk_add_f16 v23, v6, v9
	v_pk_add_f16 v27, v9, v6 neg_lo:[0,1] neg_hi:[0,1]
	v_alignbit_b32 v28, v12, v6, 16
	v_perm_b32 v6, v6, v8, s8
	v_fma_f16 v8, v31, s2, v32
	s_mov_b32 s11, 0xb5ac
	s_mov_b32 s19, 0xb94e
	v_mul_f16_sdwa v35, v25, s18 dst_sel:DWORD dst_unused:UNUSED_PAD src0_sel:WORD_1 src1_sel:DWORD
	v_perm_b32 v7, v7, v8, s8
	s_mov_b32 s14, 0xb9fd
	v_fma_f16 v8, v19, s11, -v35
	v_mul_f16_sdwa v37, v27, s19 dst_sel:DWORD dst_unused:UNUSED_PAD src0_sel:WORD_1 src1_sel:DWORD
	v_alignbit_b32 v36, v8, v4, 16
	v_fma_f16 v8, v23, s14, -v37
	v_lshrrev_b32_e32 v42, 16, v19
	v_mul_f16_e32 v39, 0xbb7b, v25
	v_alignbit_b32 v38, v8, v5, 16
	v_fma_f16 v8, v42, s11, v39
	v_lshrrev_b32_e32 v43, 16, v23
	v_mul_f16_e32 v40, 0xb94e, v27
	s_waitcnt lgkmcnt(0)
	v_pk_add_f16 v41, v14, v1
	v_pk_add_f16 v1, v1, v14 neg_lo:[0,1] neg_hi:[0,1]
	v_perm_b32 v4, v4, v8, s8
	v_fma_f16 v8, v43, s14, v40
	v_mul_f16_sdwa v44, v1, s9 dst_sel:DWORD dst_unused:UNUSED_PAD src0_sel:WORD_1 src1_sel:DWORD
	v_perm_b32 v5, v5, v8, s8
	v_fma_f16 v8, v41, s3, -v44
	v_mul_f16_sdwa v45, v20, s18 dst_sel:DWORD dst_unused:UNUSED_PAD src0_sel:WORD_1 src1_sel:DWORD
	v_add_f16_e32 v8, v8, v0
	v_fma_f16 v9, v15, s11, -v45
	s_mov_b32 s17, 0xb3a8
	v_mul_f16_sdwa v46, v1, s10 dst_sel:DWORD dst_unused:UNUSED_PAD src0_sel:WORD_1 src1_sel:DWORD
	v_add_f16_e32 v8, v9, v8
	s_mov_b32 s16, 0xbbc4
	v_fma_f16 v9, v41, s2, -v46
	v_mul_f16_sdwa v47, v20, s17 dst_sel:DWORD dst_unused:UNUSED_PAD src0_sel:WORD_1 src1_sel:DWORD
	v_add_f16_e32 v9, v9, v0
	v_fma_f16 v10, v15, s16, -v47
	v_mul_f16_sdwa v48, v21, s17 dst_sel:DWORD dst_unused:UNUSED_PAD src0_sel:WORD_1 src1_sel:DWORD
	s_movk_i32 s15, 0x3b7b
	v_add_f16_e32 v9, v10, v9
	v_fma_f16 v10, v18, s16, -v48
	v_mul_f16_sdwa v49, v21, s15 dst_sel:DWORD dst_unused:UNUSED_PAD src0_sel:WORD_1 src1_sel:DWORD
	s_movk_i32 s20, 0x394e
	;; [unrolled: 4-line block ×3, first 2 shown]
	v_add_f16_e32 v9, v10, v9
	v_fma_f16 v10, v19, s14, -v50
	s_movk_i32 s15, 0x3b15
	v_mul_f16_sdwa v51, v25, s21 dst_sel:DWORD dst_unused:UNUSED_PAD src0_sel:WORD_1 src1_sel:DWORD
	s_movk_i32 s22, 0x3bf1
	v_add_f16_e32 v8, v10, v8
	v_fma_f16 v10, v19, s15, -v51
	v_mul_f16_sdwa v52, v27, s22 dst_sel:DWORD dst_unused:UNUSED_PAD src0_sel:WORD_1 src1_sel:DWORD
	v_add_f16_e32 v9, v10, v9
	v_fma_f16 v10, v23, s2, -v52
	v_mul_f16_sdwa v53, v27, s9 dst_sel:DWORD dst_unused:UNUSED_PAD src0_sel:WORD_1 src1_sel:DWORD
	v_pk_add_f16 v55, v2, v3 neg_lo:[0,1] neg_hi:[0,1]
	v_add_f16_e32 v8, v10, v8
	v_fma_f16 v10, v23, s3, -v53
	v_pk_add_f16 v54, v3, v2
	v_mul_f16_sdwa v56, v55, s21 dst_sel:DWORD dst_unused:UNUSED_PAD src0_sel:WORD_1 src1_sel:DWORD
	v_add_f16_e32 v9, v10, v9
	v_fma_f16 v10, v54, s15, -v56
	v_mul_f16_sdwa v57, v55, s19 dst_sel:DWORD dst_unused:UNUSED_PAD src0_sel:WORD_1 src1_sel:DWORD
	v_add_f16_e32 v8, v10, v8
	v_fma_f16 v10, v54, s14, -v57
	;; [unrolled: 3-line block ×6, first 2 shown]
	v_add_f16_e32 v11, v60, v11
	v_mul_f16_sdwa v60, v21, s21 dst_sel:DWORD dst_unused:UNUSED_PAD src0_sel:WORD_1 src1_sel:DWORD
	v_fma_f16 v61, v18, s15, -v60
	v_add_f16_e32 v10, v61, v10
	v_mul_f16_sdwa v61, v21, s9 dst_sel:DWORD dst_unused:UNUSED_PAD src0_sel:WORD_1 src1_sel:DWORD
	v_fma_f16 v62, v18, s3, -v61
	;; [unrolled: 3-line block ×3, first 2 shown]
	s_movk_i32 s9, 0x33a8
	v_fma_f16 v12, v41, s11, v12
	v_add_f16_e32 v10, v63, v10
	v_mul_f16_sdwa v63, v25, s9 dst_sel:DWORD dst_unused:UNUSED_PAD src0_sel:WORD_1 src1_sel:DWORD
	v_fma_f16 v13, v15, s14, v13
	v_add_f16_e32 v12, v12, v0
	v_fma_f16 v64, v19, s16, -v63
	v_add_f16_e32 v12, v13, v12
	v_fma_f16 v13, v41, s14, v58
	v_add_f16_e32 v11, v64, v11
	v_mul_f16_sdwa v64, v27, s9 dst_sel:DWORD dst_unused:UNUSED_PAD src0_sel:WORD_1 src1_sel:DWORD
	v_fma_f16 v58, v15, s2, v59
	v_add_f16_e32 v13, v13, v0
	v_fma_f16 v65, v23, s16, -v64
	v_add_f16_e32 v13, v58, v13
	v_fma_f16 v58, v18, s15, v60
	v_add_f16_e32 v10, v65, v10
	v_mul_f16_sdwa v65, v27, s21 dst_sel:DWORD dst_unused:UNUSED_PAD src0_sel:WORD_1 src1_sel:DWORD
	v_add_f16_e32 v12, v58, v12
	v_fma_f16 v58, v18, s3, v61
	v_fma_f16 v66, v23, s15, -v65
	s_movk_i32 s9, 0x3a95
	v_add_f16_e32 v13, v58, v13
	v_fma_f16 v58, v19, s2, v62
	v_add_f16_e32 v11, v66, v11
	v_mul_f16_sdwa v66, v55, s9 dst_sel:DWORD dst_unused:UNUSED_PAD src0_sel:WORD_1 src1_sel:DWORD
	v_add_f16_e32 v12, v58, v12
	v_fma_f16 v58, v19, s16, v63
	v_fma_f16 v67, v54, s3, -v66
	v_add_f16_e32 v13, v58, v13
	v_fma_f16 v58, v23, s16, v64
	v_add_f16_e32 v10, v67, v10
	v_mul_f16_sdwa v67, v55, s18 dst_sel:DWORD dst_unused:UNUSED_PAD src0_sel:WORD_1 src1_sel:DWORD
	v_add_f16_e32 v12, v58, v12
	v_fma_f16 v58, v23, s15, v65
	v_add_f16_e32 v58, v58, v13
	v_fma_f16 v13, v54, s3, v66
	v_fma_f16 v59, v54, s11, v67
	s_mov_b32 s9, 0xb770
	v_add_f16_e32 v13, v13, v12
	v_add_f16_e32 v12, v59, v58
	v_mul_f16_sdwa v58, v1, s9 dst_sel:DWORD dst_unused:UNUSED_PAD src0_sel:WORD_1 src1_sel:DWORD
	v_fma_f16 v59, v41, s15, v58
	v_fma_f16 v22, v15, s3, v22
	v_add_f16_e32 v59, v59, v0
	v_add_f16_e32 v22, v22, v59
	v_lshrrev_b32_e32 v59, 16, v41
	v_mul_f16_e32 v60, 0xb770, v1
	v_fma_f16 v61, v59, s15, -v60
	v_fma_f16 v30, v17, s3, -v30
	v_add_f16_sdwa v61, v61, v0 dst_sel:DWORD dst_unused:UNUSED_PAD src0_sel:DWORD src1_sel:WORD_1
	v_fma_f16 v44, v41, s3, v44
	v_add_f16_e32 v30, v30, v61
	v_mul_f16_e32 v61, 0xba95, v1
	v_fma_f16 v45, v15, s11, v45
	v_add_f16_e32 v44, v44, v0
	v_fma_f16 v46, v41, s2, v46
	v_mul_f16_e32 v63, 0xbb7b, v20
	v_add_f16_e32 v44, v45, v44
	v_fma_f16 v45, v59, s3, -v61
	v_fma_f16 v47, v15, s16, v47
	v_add_f16_e32 v46, v46, v0
	v_fma_f16 v62, v59, s3, v61
	v_fma_f16 v61, v17, s11, -v63
	v_add_f16_sdwa v45, v45, v0 dst_sel:DWORD dst_unused:UNUSED_PAD src0_sel:DWORD src1_sel:WORD_1
	v_add_f16_e32 v46, v47, v46
	v_mul_f16_e32 v47, 0xbb7b, v1
	v_add_f16_sdwa v62, v62, v0 dst_sel:DWORD dst_unused:UNUSED_PAD src0_sel:DWORD src1_sel:WORD_1
	v_fma_f16 v64, v17, s11, v63
	v_add_f16_e32 v45, v61, v45
	v_fma_f16 v61, v59, s11, v47
	v_mul_f16_e32 v63, 0x394e, v20
	v_fma_f16 v47, v59, s11, -v47
	v_fma_f16 v24, v18, s2, v24
	v_add_f16_e32 v62, v64, v62
	v_fma_f16 v64, v17, s14, v63
	v_fma_f16 v63, v17, s14, -v63
	v_add_f16_sdwa v47, v47, v0 dst_sel:DWORD dst_unused:UNUSED_PAD src0_sel:DWORD src1_sel:WORD_1
	v_add_f16_e32 v22, v24, v22
	v_fma_f16 v24, v31, s2, -v32
	v_add_f16_sdwa v61, v61, v0 dst_sel:DWORD dst_unused:UNUSED_PAD src0_sel:DWORD src1_sel:WORD_1
	v_add_f16_e32 v47, v63, v47
	v_mul_f16_e32 v63, 0xb94e, v1
	v_add_f16_e32 v24, v24, v30
	v_mul_f16_e32 v30, 0xb3a8, v21
	v_fma_f16 v35, v19, s11, v35
	v_add_f16_e32 v61, v64, v61
	v_fma_f16 v64, v59, s14, v63
	v_mul_f16_e32 v65, 0x3bf1, v20
	v_fma_f16 v63, v59, s14, -v63
	v_fma_f16 v32, v31, s16, v30
	v_fma_f16 v30, v31, s16, -v30
	v_add_f16_e32 v22, v35, v22
	v_fma_f16 v35, v42, s11, -v39
	v_fma_f16 v66, v17, s2, v65
	v_fma_f16 v65, v17, s2, -v65
	v_add_f16_sdwa v63, v63, v0 dst_sel:DWORD dst_unused:UNUSED_PAD src0_sel:DWORD src1_sel:WORD_1
	s_mov_b32 s10, 0xb3a8bbf1
	v_add_f16_e32 v30, v30, v45
	v_fma_f16 v45, v18, s11, v49
	v_add_f16_e32 v24, v35, v24
	v_mul_f16_e32 v35, 0x394e, v25
	v_add_f16_sdwa v64, v64, v0 dst_sel:DWORD dst_unused:UNUSED_PAD src0_sel:DWORD src1_sel:WORD_1
	v_add_f16_e32 v63, v65, v63
	s_mov_b32 s9, 0x2fb7bbc4
	v_pk_mul_f16 v65, v1, s10
	s_mov_b32 s18, 0x3770b3a8
	v_add_f16_e32 v32, v32, v62
	v_fma_f16 v48, v18, s16, v48
	v_add_f16_e32 v45, v45, v46
	v_mul_f16_e32 v46, 0x3770, v21
	v_fma_f16 v39, v42, s14, v35
	v_fma_f16 v68, v54, s11, -v67
	v_add_f16_e32 v64, v66, v64
	v_pk_fma_f16 v66, v41, s9, v65 op_sel:[0,0,1] op_sel_hi:[1,1,0] neg_lo:[0,0,1] neg_hi:[0,0,1]
	s_mov_b32 s10, 0xbbc43b15
	v_pk_mul_f16 v67, v20, s18
	v_add_f16_e32 v44, v48, v44
	v_fma_f16 v48, v31, s15, v46
	v_fma_f16 v46, v31, s15, -v46
	v_add_f16_e32 v32, v39, v32
	v_fma_f16 v39, v19, s14, v50
	v_fma_f16 v35, v42, s14, -v35
	v_add_f16_e32 v11, v68, v11
	v_pk_add_f16 v66, v66, v0
	v_pk_fma_f16 v68, v15, s10, v67 op_sel:[0,0,1] op_sel_hi:[1,1,0] neg_lo:[0,0,1] neg_hi:[0,0,1]
	v_mul_f16_e32 v1, 0xb3a8, v1
	v_add_f16_e32 v46, v46, v47
	v_mul_f16_e32 v47, 0xba95, v21
	v_add_f16_e32 v39, v39, v44
	v_add_f16_e32 v30, v35, v30
	v_fma_f16 v35, v19, s15, v51
	v_mul_f16_e32 v44, 0xbbf1, v25
	v_pk_add_f16 v66, v68, v66
	v_mul_f16_e32 v20, 0x3770, v20
	v_fma_f16 v68, v59, s16, -v1
	v_fma_f16 v49, v31, s3, v47
	v_fma_f16 v47, v31, s3, -v47
	v_add_f16_e32 v35, v35, v45
	v_fma_f16 v45, v42, s2, v44
	v_fma_f16 v44, v42, s2, -v44
	v_add_f16_sdwa v68, v68, v0 dst_sel:DWORD dst_unused:UNUSED_PAD src0_sel:DWORD src1_sel:WORD_1
	v_fma_f16 v69, v17, s15, -v20
	v_add_f16_e32 v48, v48, v61
	v_add_f16_e32 v47, v47, v63
	s_mov_b32 s19, 0xb94e3b7b
	v_mul_f16_e32 v63, 0xb94e, v21
	v_add_f16_e32 v44, v44, v46
	v_mul_f16_e32 v46, 0x33a8, v25
	v_add_f16_e32 v68, v69, v68
	v_pk_mul_f16 v61, v21, s19
	v_fma_f16 v21, v31, s14, -v63
	v_add_f16_e32 v45, v45, v48
	v_fma_f16 v48, v42, s16, v46
	v_fma_f16 v46, v42, s16, -v46
	s_mov_b32 s20, 0x3a953770
	v_mul_f16_e32 v50, 0x3a95, v25
	v_add_f16_e32 v21, v21, v68
	v_add_f16_e32 v46, v46, v47
	v_pk_mul_f16 v47, v25, s20
	v_fma_f16 v25, v42, s3, -v50
	v_add_f16_e32 v21, v25, v21
	v_alignbit_b32 v25, s0, v26, 16
	v_alignbit_b32 v51, s0, v2, 16
	v_pk_add_f16 v25, v25, v51
	v_pk_fma_f16 v51, v41, s9, v65 op_sel:[0,0,1] op_sel_hi:[1,1,0]
	v_mul_f16_sdwa v41, v41, s15 dst_sel:WORD_1 dst_unused:UNUSED_PAD src0_sel:DWORD src1_sel:DWORD
	v_alignbit_b32 v58, v58, v2, 16
	v_pk_add_f16 v41, v41, v58 neg_lo:[0,1] neg_hi:[0,1]
	s_mov_b32 s9, 0xffff
	v_bfi_b32 v25, s9, v25, v41
	v_alignbit_b32 v41, v0, v3, 16
	v_pk_add_f16 v25, v41, v25
	v_pk_add_f16 v25, v28, v25
	v_mul_f16_e32 v28, 0x3b15, v59
	v_pack_b32_f16 v26, v28, v26
	v_perm_b32 v2, v2, v60, s8
	v_pk_add_f16 v2, v2, v26
	v_alignbit_b32 v3, v3, v0, 16
	v_pk_add_f16 v2, v2, v3
	v_pk_add_f16 v2, v6, v2
	v_fma_f16 v3, v23, s14, v37
	v_pk_add_f16 v2, v7, v2
	v_add_f16_e32 v3, v3, v22
	v_fma_f16 v22, v23, s3, v53
	v_pk_add_f16 v2, v4, v2
	v_fma_f16 v4, v43, s14, -v40
	v_add_f16_e32 v26, v22, v35
	v_mul_f16_e32 v22, 0x33a8, v27
	s_mov_b32 s18, 0xb5acb9fd
	v_add_f16_e32 v4, v4, v24
	v_fma_f16 v24, v43, s16, v22
	v_fma_f16 v22, v43, s16, -v22
	v_add_f16_e32 v49, v49, v64
	v_pk_fma_f16 v62, v18, s18, v61 op_sel:[0,0,1] op_sel_hi:[1,1,0] neg_lo:[0,0,1] neg_hi:[0,0,1]
	s_mov_b32 s19, 0x3b15388b
	v_pk_add_f16 v25, v29, v25
	v_pk_add_f16 v2, v5, v2
	v_mul_f16_e32 v5, 0x3bf1, v27
	v_add_f16_e32 v29, v22, v44
	v_mul_f16_e32 v22, 0x3770, v27
	s_mov_b32 s21, 0xbb7bba95
	v_pk_add_f16 v62, v62, v66
	v_add_f16_e32 v48, v48, v49
	v_pk_fma_f16 v49, v19, s19, v47 op_sel:[0,0,1] op_sel_hi:[1,1,0] neg_lo:[0,0,1] neg_hi:[0,0,1]
	v_fma_f16 v6, v43, s2, v5
	v_add_f16_e32 v28, v24, v45
	v_fma_f16 v24, v43, s15, v22
	v_fma_f16 v22, v43, s15, -v22
	s_mov_b32 s20, 0x388bb5ac
	v_pk_mul_f16 v35, v27, s21
	v_pk_add_f16 v49, v49, v62
	v_add_f16_e32 v6, v6, v32
	v_add_f16_e32 v32, v22, v46
	v_pk_fma_f16 v22, v23, s20, v35 op_sel:[0,0,1] op_sel_hi:[1,1,0] neg_lo:[0,0,1] neg_hi:[0,0,1]
	v_mul_f16_e32 v37, 0xbb7b, v27
	v_pk_add_f16 v25, v36, v25
	v_pk_add_f16 v36, v22, v49
	v_fma_f16 v22, v43, s11, -v37
	v_pk_add_f16 v25, v38, v25
	v_add_f16_e32 v38, v22, v21
	v_mul_f16_sdwa v22, v55, s17 dst_sel:DWORD dst_unused:UNUSED_PAD src0_sel:WORD_1 src1_sel:DWORD
	v_fma_f16 v5, v43, s2, -v5
	v_fma_f16 v21, v54, s16, -v22
	v_add_f16_e32 v5, v5, v30
	v_add_f16_e32 v30, v24, v48
	v_alignbit_b32 v21, v21, v14, 16
	v_lshrrev_b32_e32 v44, 16, v54
	v_mul_f16_e32 v24, 0xb3a8, v55
	v_pk_add_f16 v21, v21, v25
	v_fma_f16 v25, v44, s16, v24
	v_perm_b32 v14, v14, v25, s8
	v_fma_f16 v7, v23, s2, v52
	v_pk_add_f16 v14, v14, v2
	v_fma_f16 v2, v54, s16, v22
	v_add_f16_e32 v7, v7, v39
	v_add_f16_e32 v39, v2, v3
	v_fma_f16 v2, v44, s16, -v24
	v_add_f16_e32 v40, v2, v4
	v_mul_f16_e32 v2, 0x3770, v55
	v_fma_f16 v3, v44, s15, v2
	v_fma_f16 v2, v44, s15, -v2
	v_pk_mul_f16 v4, v15, s10
	v_add_f16_e32 v24, v3, v6
	v_add_f16_e32 v22, v2, v5
	v_add_f16_sdwa v3, v51, v0 dst_sel:DWORD dst_unused:UNUSED_PAD src0_sel:WORD_1 src1_sel:WORD_1
	v_add_f16_sdwa v5, v67, v4 dst_sel:DWORD dst_unused:UNUSED_PAD src0_sel:DWORD src1_sel:WORD_1
	v_add_f16_e32 v3, v5, v3
	v_pk_mul_f16 v5, v18, s18
	v_add_f16_sdwa v6, v61, v5 dst_sel:DWORD dst_unused:UNUSED_PAD src0_sel:DWORD src1_sel:WORD_1
	v_add_f16_e32 v3, v6, v3
	v_pk_mul_f16 v6, v19, s19
	v_add_f16_sdwa v15, v47, v6 dst_sel:DWORD dst_unused:UNUSED_PAD src0_sel:DWORD src1_sel:WORD_1
	v_fma_f16 v1, v59, s16, v1
	v_mul_f16_e32 v2, 0x3b15, v17
	s_mov_b32 s16, 0x7060302
	v_add_f16_e32 v3, v15, v3
	v_pk_mul_f16 v15, v23, s20
	v_perm_b32 v2, v0, v2, s8
	v_perm_b32 v0, v67, v0, s16
	v_add_f16_sdwa v17, v35, v15 dst_sel:DWORD dst_unused:UNUSED_PAD src0_sel:DWORD src1_sel:WORD_1
	s_mov_b32 s10, 0xb9fd2fb7
	s_mov_b32 s16, 0x3bf1b94e
	v_add_f16_e32 v3, v17, v3
	v_pk_mul_f16 v17, v54, s10
	v_pk_mul_f16 v18, v55, s16
	v_add_f16_sdwa v19, v18, v17 dst_sel:DWORD dst_unused:UNUSED_PAD src0_sel:DWORD src1_sel:WORD_1
	v_add_f16_e32 v23, v19, v3
	v_fma_f16 v3, v54, s14, v57
	v_add_f16_e32 v26, v3, v26
	v_mul_f16_e32 v3, 0x3a95, v55
	v_fma_f16 v19, v44, s3, v3
	v_fma_f16 v3, v44, s3, -v3
	v_add_f16_e32 v27, v3, v29
	v_mul_f16_e32 v3, 0xbb7b, v55
	v_add_f16_e32 v25, v19, v28
	v_fma_f16 v19, v44, s11, v3
	v_add_f16_e32 v28, v19, v30
	v_pk_fma_f16 v19, v54, s10, v18 op_sel:[0,0,1] op_sel_hi:[1,1,0] neg_lo:[0,0,1] neg_hi:[0,0,1]
	v_pk_add_f16 v41, v19, v36
	v_pack_b32_f16 v19, v20, v51
	v_pack_b32_f16 v1, v1, v4
	v_pk_add_f16 v2, v19, v2
	v_pk_add_f16 v0, v1, v0
	;; [unrolled: 1-line block ×3, first 2 shown]
	v_mul_f16_e32 v2, 0xb9fd, v31
	v_pack_b32_f16 v1, v63, v5
	v_bfi_b32 v2, s9, v2, v61
	v_pk_add_f16 v1, v1, v2
	v_mul_f16_e32 v2, 0x388b, v42
	v_pk_add_f16 v0, v1, v0
	v_pack_b32_f16 v1, v50, v6
	v_bfi_b32 v2, s9, v2, v47
	v_pk_add_f16 v1, v1, v2
	v_mul_f16_e32 v2, 0xb5ac, v43
	v_pk_add_f16 v0, v1, v0
	v_pack_b32_f16 v1, v37, v15
	v_bfi_b32 v2, s9, v2, v35
	v_fma_f16 v3, v44, s11, -v3
	v_pk_add_f16 v1, v1, v2
	v_add_f16_e32 v29, v3, v32
	v_fma_f16 v3, v54, s15, v56
	v_pk_add_f16 v0, v1, v0
	v_mul_f16_e32 v1, 0x2fb7, v44
	v_mul_f16_e32 v2, 0x3bf1, v55
	s_load_dwordx2 s[14:15], s[4:5], 0x8
	v_bfi_b32 v1, s9, v1, v18
	v_pack_b32_f16 v4, v2, v17
	v_pk_add_f16 v1, v4, v1
	v_pk_add_f16 v42, v1, v0
	v_fma_f16 v0, v44, s2, -v2
	v_add_f16_e32 v43, v0, v38
	v_add_f16_e32 v20, v3, v7
	v_mul_lo_u16_e32 v37, 13, v34
	s_waitcnt lgkmcnt(0)
	s_barrier
	s_and_saveexec_b64 s[2:3], s[0:1]
	s_cbranch_execz .LBB0_7
; %bb.6:
	v_lshlrev_b32_e32 v0, 2, v37
	v_alignbit_b32 v1, v14, v21, 16
	v_alignbit_b32 v2, v21, v14, 16
	ds_write2_b32 v0, v2, v1 offset1:1
	v_perm_b32 v1, v23, v9, s8
	v_perm_b32 v2, v24, v8, s8
	ds_write2_b32 v0, v2, v1 offset0:2 offset1:3
	v_perm_b32 v1, v28, v11, s8
	v_perm_b32 v2, v25, v10, s8
	ds_write2_b32 v0, v2, v1 offset0:4 offset1:5
	v_perm_b32 v1, v42, v41, s8
	v_alignbit_b32 v2, v43, v42, 16
	ds_write2_b32 v0, v1, v2 offset0:6 offset1:7
	v_perm_b32 v1, v27, v13, s8
	v_perm_b32 v2, v29, v12, s8
	ds_write2_b32 v0, v2, v1 offset0:8 offset1:9
	v_perm_b32 v1, v22, v20, s8
	v_bfi_b32 v2, s9, v26, v41
	ds_write2_b32 v0, v2, v1 offset0:10 offset1:11
	v_perm_b32 v1, v40, v39, s8
	ds_write_b32 v0, v1 offset:48
.LBB0_7:
	s_or_b64 exec, exec, s[2:3]
	s_load_dwordx2 s[4:5], s[4:5], 0x20
	s_movk_i32 s2, 0x82
	v_cmp_gt_u16_e64 s[2:3], s2, v34
	v_lshrrev_b32_e32 v15, 16, v21
	v_lshrrev_b32_e32 v19, 16, v42
	s_waitcnt lgkmcnt(0)
	s_barrier
	s_and_saveexec_b64 s[8:9], s[2:3]
	s_cbranch_execz .LBB0_9
; %bb.8:
	v_add_u32_e32 v0, 0x400, v33
	ds_read2_b32 v[8:9], v0 offset0:4 offset1:134
	v_add_u32_e32 v0, 0x800, v33
	ds_read2_b32 v[10:11], v0 offset0:8 offset1:138
	;; [unrolled: 2-line block ×3, first 2 shown]
	v_add_u32_e32 v0, 0x1000, v33
	ds_read2_b32 v[14:15], v33 offset1:130
	ds_read2_b32 v[12:13], v0 offset0:16 offset1:146
	ds_read_b32 v26, v33 offset:5200
	s_mov_b32 s10, 0xffff
	s_waitcnt lgkmcnt(5)
	v_lshrrev_b32_e32 v24, 16, v8
	s_waitcnt lgkmcnt(2)
	v_lshrrev_b32_e32 v21, 16, v14
	v_lshrrev_b32_e32 v23, 16, v9
	;; [unrolled: 1-line block ×6, first 2 shown]
	s_waitcnt lgkmcnt(1)
	v_lshrrev_b32_e32 v29, 16, v12
	v_lshrrev_b32_e32 v27, 16, v13
	s_waitcnt lgkmcnt(0)
	v_bfi_b32 v41, s10, v18, v26
	v_alignbit_b32 v14, v14, v15, 16
.LBB0_9:
	s_or_b64 exec, exec, s[8:9]
	s_movk_i32 s8, 0x4f
	v_mul_lo_u16_sdwa v0, v34, s8 dst_sel:DWORD dst_unused:UNUSED_PAD src0_sel:BYTE_0 src1_sel:DWORD
	v_lshrrev_b16_e32 v35, 10, v0
	v_mul_lo_u16_e32 v0, 13, v35
	v_sub_u16_e32 v0, v34, v0
	v_and_b32_e32 v36, 0xff, v0
	v_mul_u32_u24_e32 v0, 10, v36
	v_lshlrev_b32_e32 v30, 2, v0
	global_load_dwordx4 v[0:3], v30, s[14:15]
	global_load_dwordx4 v[4:7], v30, s[14:15] offset:16
	global_load_dwordx2 v[17:18], v30, s[14:15] offset:32
	v_lshrrev_b32_e32 v54, 16, v41
	s_movk_i32 s10, 0x3abb
	s_movk_i32 s11, 0x36a6
	s_mov_b32 s16, 0xb08e
	s_mov_b32 s17, 0xb93d
	;; [unrolled: 1-line block ×8, first 2 shown]
	s_waitcnt vmcnt(0)
	s_barrier
	v_mul_f16_sdwa v30, v14, v0 dst_sel:DWORD dst_unused:UNUSED_PAD src0_sel:DWORD src1_sel:WORD_1
	v_mul_f16_sdwa v31, v15, v0 dst_sel:DWORD dst_unused:UNUSED_PAD src0_sel:DWORD src1_sel:WORD_1
	;; [unrolled: 1-line block ×8, first 2 shown]
	v_fma_f16 v44, v15, v0, -v30
	v_fma_f16 v30, v14, v0, v31
	v_fma_f16 v42, v42, v5, v53
	v_fma_f16 v53, v26, v18, -v61
	v_fma_f16 v26, v54, v18, v62
	v_mul_f16_sdwa v32, v24, v1 dst_sel:DWORD dst_unused:UNUSED_PAD src0_sel:DWORD src1_sel:WORD_1
	v_mul_f16_sdwa v47, v9, v2 dst_sel:DWORD dst_unused:UNUSED_PAD src0_sel:DWORD src1_sel:WORD_1
	;; [unrolled: 1-line block ×7, first 2 shown]
	v_fma_f16 v31, v24, v1, v38
	v_fma_f16 v27, v27, v17, v60
	v_sub_f16_e32 v63, v30, v26
	v_mul_f16_sdwa v46, v23, v2 dst_sel:DWORD dst_unused:UNUSED_PAD src0_sel:DWORD src1_sel:WORD_1
	v_mul_f16_sdwa v48, v25, v3 dst_sel:DWORD dst_unused:UNUSED_PAD src0_sel:DWORD src1_sel:WORD_1
	;; [unrolled: 1-line block ×5, first 2 shown]
	v_fma_f16 v45, v8, v1, -v32
	v_fma_f16 v32, v23, v2, v47
	v_fma_f16 v38, v25, v3, v49
	;; [unrolled: 1-line block ×3, first 2 shown]
	v_fma_f16 v49, v41, v5, -v52
	v_fma_f16 v51, v12, v7, -v57
	v_fma_f16 v29, v29, v7, v58
	v_fma_f16 v52, v13, v17, -v59
	v_add_f16_e32 v8, v44, v53
	v_sub_f16_e32 v67, v44, v53
	v_sub_f16_e32 v64, v31, v27
	v_mul_f16_e32 v57, 0xb853, v63
	v_fma_f16 v46, v9, v2, -v46
	v_fma_f16 v47, v10, v3, -v48
	;; [unrolled: 1-line block ×4, first 2 shown]
	v_fma_f16 v43, v43, v6, v56
	v_add_f16_e32 v12, v30, v26
	v_add_f16_e32 v9, v45, v52
	v_sub_f16_e32 v68, v45, v52
	v_sub_f16_e32 v65, v32, v29
	v_mul_f16_e32 v61, 0xb853, v67
	v_mul_f16_e32 v56, 0xbb47, v64
	v_fma_f16 v19, v8, s10, v57
	v_add_f16_e32 v13, v31, v27
	v_add_f16_e32 v10, v46, v51
	v_sub_f16_e32 v70, v46, v51
	v_sub_f16_e32 v66, v38, v43
	v_mul_f16_e32 v60, 0xbb47, v68
	v_mul_f16_e32 v55, 0xbbeb, v65
	v_fma_f16 v24, v12, s10, -v61
	v_fma_f16 v25, v9, s11, v56
	v_add_f16_sdwa v19, v14, v19 dst_sel:DWORD dst_unused:UNUSED_PAD src0_sel:WORD_1 src1_sel:DWORD
	v_add_f16_e32 v15, v32, v29
	v_add_f16_e32 v11, v47, v50
	v_sub_f16_e32 v71, v47, v50
	v_mul_f16_e32 v59, 0xbbeb, v70
	v_mul_f16_e32 v54, 0xba0c, v66
	v_fma_f16 v41, v13, s11, -v60
	v_fma_f16 v62, v10, s16, v55
	v_add_f16_e32 v24, v21, v24
	v_add_f16_e32 v19, v25, v19
	;; [unrolled: 1-line block ×3, first 2 shown]
	v_mul_f16_e32 v58, 0xba0c, v71
	v_fma_f16 v69, v15, s16, -v59
	v_add_f16_e32 v24, v41, v24
	v_add_f16_e32 v19, v62, v19
	v_fma_f16 v25, v11, s17, v54
	v_add_f16_e32 v24, v69, v24
	v_add_f16_e32 v19, v25, v19
	v_fma_f16 v25, v23, s17, -v58
	v_sub_f16_e32 v72, v28, v42
	v_add_f16_e32 v41, v25, v24
	v_add_f16_e32 v24, v48, v49
	v_sub_f16_e32 v73, v48, v49
	v_mul_f16_e32 v62, 0xb482, v72
	v_add_f16_e32 v25, v28, v42
	v_mul_f16_e32 v69, 0xb482, v73
	v_fma_f16 v74, v24, s18, v62
	v_add_f16_e32 v19, v74, v19
	v_fma_f16 v74, v25, s18, -v69
	v_add_f16_e32 v41, v74, v41
	s_and_saveexec_b64 s[8:9], s[2:3]
	s_cbranch_execz .LBB0_11
; %bb.10:
	v_mul_f16_e32 v74, 0xbbad, v12
	s_movk_i32 s24, 0x3482
	v_fma_f16 v75, v67, s24, v74
	v_mul_f16_e32 v76, 0x3abb, v13
	v_add_f16_e32 v75, v21, v75
	v_fma_f16 v77, v68, s20, v76
	v_add_f16_e32 v75, v77, v75
	v_mul_f16_e32 v77, 0xb93d, v15
	s_movk_i32 s20, 0x3a0c
	v_fma_f16 v78, v70, s20, v77
	v_add_f16_e32 v75, v78, v75
	v_mul_f16_e32 v78, 0x36a6, v23
	v_fma_f16 v79, v71, s22, v78
	v_add_f16_e32 v75, v79, v75
	v_mul_f16_e32 v79, 0xb08e, v25
	s_movk_i32 s20, 0x3beb
	v_fma_f16 v80, v73, s20, v79
	s_movk_i32 s20, 0x3853
	v_fma_f16 v74, v67, s23, v74
	v_add_f16_e32 v75, v80, v75
	v_mul_f16_e32 v80, 0xb482, v63
	v_add_f16_e32 v74, v21, v74
	v_fma_f16 v76, v68, s20, v76
	v_fma_f16 v81, v8, s18, v80
	v_mul_f16_e32 v82, 0x3853, v64
	s_movk_i32 s22, 0x3b47
	v_add_f16_e32 v74, v76, v74
	v_fma_f16 v76, v70, s21, v77
	v_add_f16_sdwa v81, v14, v81 dst_sel:DWORD dst_unused:UNUSED_PAD src0_sel:WORD_1 src1_sel:DWORD
	v_fma_f16 v83, v9, s10, v82
	v_add_f16_e32 v74, v76, v74
	v_fma_f16 v76, v71, s22, v78
	v_add_f16_e32 v81, v83, v81
	v_mul_f16_e32 v83, 0xba0c, v65
	v_add_f16_e32 v74, v76, v74
	v_fma_f16 v76, v73, s19, v79
	v_fma_f16 v84, v10, s17, v83
	v_add_f16_e32 v74, v76, v74
	v_fma_f16 v76, v8, s18, -v80
	v_add_f16_e32 v81, v84, v81
	v_mul_f16_e32 v84, 0x3b47, v66
	v_add_f16_sdwa v76, v14, v76 dst_sel:DWORD dst_unused:UNUSED_PAD src0_sel:WORD_1 src1_sel:DWORD
	v_fma_f16 v77, v9, s10, -v82
	v_fma_f16 v85, v11, s11, v84
	v_add_f16_e32 v76, v77, v76
	v_fma_f16 v77, v10, s17, -v83
	v_add_f16_e32 v81, v85, v81
	v_mul_f16_e32 v85, 0xbbeb, v72
	v_add_f16_e32 v76, v77, v76
	v_fma_f16 v77, v11, s11, -v84
	v_add_f16_e32 v76, v77, v76
	v_fma_f16 v77, v24, s16, -v85
	v_add_f16_e32 v76, v77, v76
	v_mul_f16_e32 v77, 0xba0c, v67
	v_fma_f16 v78, v12, s17, v77
	v_mul_f16_e32 v79, 0x3beb, v68
	v_add_f16_e32 v78, v21, v78
	v_fma_f16 v80, v13, s16, v79
	v_add_f16_e32 v78, v80, v78
	v_mul_f16_e32 v80, 0xb853, v70
	v_fma_f16 v82, v15, s10, v80
	v_add_f16_e32 v78, v82, v78
	v_mul_f16_e32 v82, 0xb482, v71
	;; [unrolled: 3-line block ×3, first 2 shown]
	v_fma_f16 v84, v25, s11, v83
	v_fma_f16 v86, v24, s16, v85
	v_add_f16_e32 v78, v84, v78
	v_mul_f16_e32 v84, 0xba0c, v63
	v_add_f16_e32 v81, v86, v81
	v_fma_f16 v85, v8, s17, -v84
	v_mul_f16_e32 v86, 0x3beb, v64
	v_add_f16_sdwa v85, v14, v85 dst_sel:DWORD dst_unused:UNUSED_PAD src0_sel:WORD_1 src1_sel:DWORD
	v_fma_f16 v87, v9, s16, -v86
	v_add_f16_e32 v85, v87, v85
	v_mul_f16_e32 v87, 0xb853, v65
	v_fma_f16 v88, v10, s10, -v87
	v_add_f16_e32 v85, v88, v85
	v_mul_f16_e32 v88, 0xb482, v66
	;; [unrolled: 3-line block ×4, first 2 shown]
	v_fma_f16 v91, v12, s16, v90
	v_mul_f16_e32 v92, 0x3482, v68
	v_add_f16_e32 v91, v21, v91
	v_fma_f16 v93, v13, s18, v92
	v_add_f16_e32 v91, v93, v91
	v_mul_f16_e32 v93, 0x3b47, v70
	v_fma_f16 v94, v15, s11, v93
	v_add_f16_e32 v91, v94, v91
	v_mul_f16_e32 v94, 0xb853, v71
	v_fma_f16 v95, v23, s10, v94
	v_add_f16_e32 v91, v95, v91
	v_mul_f16_e32 v95, 0xba0c, v73
	v_fma_f16 v96, v25, s17, v95
	v_add_f16_e32 v91, v96, v91
	v_mul_f16_e32 v96, 0xbbeb, v63
	v_fma_f16 v97, v8, s16, -v96
	v_mul_f16_e32 v98, 0x3482, v64
	v_add_f16_sdwa v97, v14, v97 dst_sel:DWORD dst_unused:UNUSED_PAD src0_sel:WORD_1 src1_sel:DWORD
	v_fma_f16 v99, v9, s18, -v98
	v_add_f16_e32 v97, v99, v97
	v_mul_f16_e32 v99, 0x3b47, v65
	v_fma_f16 v100, v10, s11, -v99
	v_add_f16_e32 v97, v100, v97
	v_mul_f16_e32 v100, 0xb853, v66
	;; [unrolled: 3-line block ×3, first 2 shown]
	v_fma_f16 v102, v24, s17, -v101
	v_mul_f16_e32 v67, 0xbb47, v67
	v_add_f16_e32 v30, v21, v30
	v_add_f16_e32 v97, v102, v97
	v_fma_f16 v102, v12, s11, v67
	v_mul_f16_e32 v68, 0xba0c, v68
	v_add_f16_e32 v30, v30, v31
	v_add_f16_e32 v102, v21, v102
	v_fma_f16 v103, v13, s17, v68
	;; [unrolled: 4-line block ×5, first 2 shown]
	v_mul_f16_e32 v63, 0xbb47, v63
	v_add_f16_e32 v28, v28, v42
	v_add_f16_e32 v102, v103, v102
	v_fma_f16 v103, v8, s11, -v63
	v_mul_f16_e32 v64, 0xba0c, v64
	v_add_f16_e32 v28, v28, v43
	v_add_f16_sdwa v103, v14, v103 dst_sel:DWORD dst_unused:UNUSED_PAD src0_sel:WORD_1 src1_sel:DWORD
	v_fma_f16 v104, v9, s17, -v64
	v_mul_f16_e32 v65, 0x3482, v65
	v_add_f16_e32 v28, v28, v29
	v_add_f16_e32 v103, v104, v103
	v_fma_f16 v104, v10, s18, -v65
	v_mul_f16_e32 v66, 0x3beb, v66
	v_add_f16_e32 v27, v28, v27
	v_add_f16_e32 v103, v104, v103
	v_fma_f16 v104, v11, s16, -v66
	v_mul_f16_e32 v72, 0x3853, v72
	v_add_f16_e32 v26, v27, v26
	v_fma_f16 v27, v12, s17, -v77
	v_add_f16_e32 v103, v104, v103
	v_fma_f16 v104, v24, s10, -v72
	;; [unrolled: 2-line block ×3, first 2 shown]
	v_add_f16_e32 v103, v104, v103
	v_mul_f16_e32 v104, 0x3abb, v12
	v_add_f16_e32 v27, v28, v27
	v_fma_f16 v28, v15, s10, -v80
	v_add_f16_e32 v61, v61, v104
	v_mul_f16_e32 v104, 0x36a6, v13
	v_add_f16_e32 v27, v28, v27
	v_fma_f16 v28, v23, s18, -v82
	v_add_f16_e32 v60, v60, v104
	v_add_f16_e32 v61, v21, v61
	v_add_f16_e32 v27, v28, v27
	v_fma_f16 v28, v25, s11, -v83
	v_add_f16_e32 v60, v60, v61
	v_mul_f16_e32 v61, 0xb08e, v15
	v_add_f16_e32 v27, v28, v27
	v_fma_f16 v28, v8, s17, v84
	v_add_f16_e32 v59, v59, v61
	v_add_f16_sdwa v28, v14, v28 dst_sel:DWORD dst_unused:UNUSED_PAD src0_sel:WORD_1 src1_sel:DWORD
	v_fma_f16 v29, v9, s16, v86
	v_add_f16_e32 v59, v59, v60
	v_mul_f16_e32 v60, 0xb93d, v23
	v_add_f16_e32 v28, v29, v28
	v_fma_f16 v29, v10, s10, v87
	v_add_f16_e32 v58, v58, v60
	v_add_f16_e32 v28, v29, v28
	v_fma_f16 v29, v11, s18, v88
	v_add_f16_e32 v58, v58, v59
	v_mul_f16_e32 v59, 0xbbad, v25
	v_add_f16_e32 v28, v29, v28
	v_fma_f16 v29, v24, s11, v89
	v_add_f16_e32 v59, v69, v59
	v_add_f16_e32 v28, v29, v28
	v_fma_f16 v29, v12, s16, -v90
	v_add_f16_e32 v58, v59, v58
	v_mul_f16_e32 v59, 0x3abb, v8
	v_add_f16_sdwa v44, v14, v44 dst_sel:DWORD dst_unused:UNUSED_PAD src0_sel:WORD_1 src1_sel:DWORD
	v_add_f16_e32 v29, v21, v29
	v_fma_f16 v30, v13, s18, -v92
	v_sub_f16_e32 v57, v59, v57
	v_mul_f16_e32 v59, 0x36a6, v9
	v_add_f16_e32 v44, v44, v45
	v_add_f16_e32 v29, v30, v29
	v_fma_f16 v30, v15, s11, -v93
	v_sub_f16_e32 v56, v59, v56
	v_add_f16_sdwa v57, v14, v57 dst_sel:DWORD dst_unused:UNUSED_PAD src0_sel:WORD_1 src1_sel:DWORD
	v_add_f16_e32 v44, v44, v46
	v_add_f16_e32 v29, v30, v29
	v_fma_f16 v30, v23, s10, -v94
	v_add_f16_e32 v56, v56, v57
	v_mul_f16_e32 v57, 0xb08e, v10
	v_add_f16_e32 v44, v44, v47
	v_add_f16_e32 v29, v30, v29
	v_fma_f16 v30, v25, s17, -v95
	v_sub_f16_e32 v55, v57, v55
	v_add_f16_e32 v44, v44, v48
	v_add_f16_e32 v29, v30, v29
	v_fma_f16 v30, v8, s16, v96
	v_fma_f16 v8, v8, s11, v63
	v_add_f16_e32 v55, v55, v56
	v_mul_f16_e32 v56, 0xb93d, v11
	v_add_f16_e32 v44, v44, v49
	v_fma_f16 v31, v9, s18, v98
	v_add_f16_sdwa v8, v14, v8 dst_sel:DWORD dst_unused:UNUSED_PAD src0_sel:WORD_1 src1_sel:DWORD
	v_fma_f16 v9, v9, s17, v64
	v_sub_f16_e32 v54, v56, v54
	v_add_f16_e32 v44, v44, v50
	v_add_f16_e32 v8, v9, v8
	v_fma_f16 v9, v10, s18, v65
	v_add_f16_e32 v54, v54, v55
	v_mul_f16_e32 v55, 0xbbad, v24
	v_add_f16_e32 v44, v44, v51
	v_add_f16_e32 v8, v9, v8
	v_fma_f16 v9, v11, s16, v66
	v_sub_f16_e32 v55, v55, v62
	v_add_f16_e32 v44, v44, v52
	v_add_f16_sdwa v30, v14, v30 dst_sel:DWORD dst_unused:UNUSED_PAD src0_sel:WORD_1 src1_sel:DWORD
	v_fma_f16 v12, v12, s11, -v67
	v_add_f16_e32 v8, v9, v8
	v_fma_f16 v9, v24, s10, v72
	v_add_f16_e32 v54, v55, v54
	v_add_f16_e32 v44, v44, v53
	;; [unrolled: 1-line block ×3, first 2 shown]
	v_fma_f16 v31, v10, s11, v99
	v_add_f16_e32 v12, v21, v12
	v_fma_f16 v13, v13, s17, -v68
	v_add_f16_e32 v8, v9, v8
	v_mul_u32_u24_e32 v9, 0x8f, v35
	v_add_f16_e32 v30, v31, v30
	v_fma_f16 v31, v11, s10, v100
	v_add_f16_e32 v12, v13, v12
	v_fma_f16 v13, v15, s18, -v70
	v_add_lshl_u32 v9, v9, v36, 2
	v_pack_b32_f16 v10, v44, v26
	v_pack_b32_f16 v11, v54, v58
	v_add_f16_e32 v12, v13, v12
	v_fma_f16 v13, v23, s16, -v71
	ds_write2_b32 v9, v10, v11 offset1:13
	v_pack_b32_f16 v10, v103, v102
	v_pack_b32_f16 v11, v97, v91
	v_add_f16_e32 v30, v31, v30
	v_fma_f16 v31, v24, s17, v101
	v_add_f16_e32 v12, v13, v12
	v_fma_f16 v13, v25, s10, -v73
	ds_write2_b32 v9, v10, v11 offset0:26 offset1:39
	v_pack_b32_f16 v10, v85, v78
	v_pack_b32_f16 v11, v76, v74
	v_add_f16_e32 v30, v31, v30
	v_add_f16_e32 v12, v13, v12
	ds_write2_b32 v9, v10, v11 offset0:52 offset1:65
	v_pack_b32_f16 v10, v81, v75
	v_pack_b32_f16 v11, v28, v27
	ds_write2_b32 v9, v10, v11 offset0:78 offset1:91
	v_pack_b32_f16 v10, v30, v29
	v_pack_b32_f16 v8, v8, v12
	s_mov_b32 s10, 0x5040100
	ds_write2_b32 v9, v10, v8 offset0:104 offset1:117
	v_perm_b32 v8, v41, v19, s10
	ds_write_b32 v9, v8 offset:520
.LBB0_11:
	s_or_b64 exec, exec, s[8:9]
	s_load_dwordx4 s[8:11], s[4:5], 0x0
	v_mad_u64_u32 v[23:24], s[4:5], v34, 36, s[14:15]
	s_waitcnt lgkmcnt(0)
	s_barrier
	global_load_dwordx4 v[8:11], v[23:24], off offset:520
	global_load_dwordx4 v[12:15], v[23:24], off offset:536
	global_load_dword v38, v[23:24], off offset:552
	v_add_u32_e32 v21, 0x400, v33
	ds_read2_b32 v[23:24], v33 offset1:143
	v_add_u32_e32 v42, 0x800, v33
	v_add_u32_e32 v52, 0xc00, v33
	v_add_u32_e32 v54, 0x1100, v33
	ds_read2_b32 v[25:26], v21 offset0:30 offset1:173
	ds_read2_b32 v[27:28], v42 offset0:60 offset1:203
	;; [unrolled: 1-line block ×4, first 2 shown]
	s_waitcnt lgkmcnt(4)
	v_lshrrev_b32_e32 v44, 16, v24
	s_waitcnt lgkmcnt(3)
	v_lshrrev_b32_e32 v45, 16, v25
	;; [unrolled: 2-line block ×5, first 2 shown]
	v_lshrrev_b32_e32 v46, 16, v26
	s_movk_i32 s4, 0x3b9c
	s_mov_b32 s15, 0xbb9c
	s_movk_i32 s5, 0x38b4
	s_mov_b32 s16, 0xb8b4
	s_movk_i32 s14, 0x34f2
	v_lshrrev_b32_e32 v43, 16, v23
	v_lshrrev_b32_e32 v48, 16, v28
	;; [unrolled: 1-line block ×4, first 2 shown]
	s_movk_i32 s17, 0x3a79
	s_waitcnt vmcnt(2)
	v_mul_f16_sdwa v61, v47, v11 dst_sel:DWORD dst_unused:UNUSED_PAD src0_sel:DWORD src1_sel:WORD_1
	s_waitcnt vmcnt(1)
	v_mul_f16_sdwa v65, v49, v13 dst_sel:DWORD dst_unused:UNUSED_PAD src0_sel:DWORD src1_sel:WORD_1
	v_mul_f16_sdwa v56, v24, v8 dst_sel:DWORD dst_unused:UNUSED_PAD src0_sel:DWORD src1_sel:WORD_1
	;; [unrolled: 1-line block ×8, first 2 shown]
	v_fma_f16 v27, v27, v11, -v61
	v_fma_f16 v29, v29, v13, -v65
	v_mul_f16_sdwa v55, v44, v8 dst_sel:DWORD dst_unused:UNUSED_PAD src0_sel:DWORD src1_sel:WORD_1
	v_mul_f16_sdwa v59, v46, v10 dst_sel:DWORD dst_unused:UNUSED_PAD src0_sel:DWORD src1_sel:WORD_1
	;; [unrolled: 1-line block ×3, first 2 shown]
	v_fma_f16 v44, v44, v8, v56
	v_fma_f16 v25, v25, v9, -v57
	v_fma_f16 v45, v45, v9, v58
	v_fma_f16 v31, v31, v15, -v69
	v_fma_f16 v51, v51, v15, v70
	v_add_f16_e32 v56, v27, v29
	v_fma_f16 v26, v26, v10, -v59
	v_fma_f16 v46, v46, v10, v60
	v_fma_f16 v47, v47, v11, v62
	;; [unrolled: 1-line block ×3, first 2 shown]
	v_sub_f16_e32 v57, v45, v51
	v_sub_f16_e32 v59, v25, v27
	;; [unrolled: 1-line block ×3, first 2 shown]
	v_fma_f16 v56, v56, -0.5, v23
	v_sub_f16_e32 v58, v47, v49
	v_add_f16_e32 v61, v25, v31
	v_add_f16_e32 v59, v59, v60
	v_fma_f16 v60, v57, s4, v56
	v_fma_f16 v56, v57, s15, v56
	v_fma_f16 v24, v24, v8, -v55
	v_add_f16_e32 v55, v23, v25
	v_fma_f16 v23, v61, -0.5, v23
	v_fma_f16 v60, v58, s5, v60
	v_fma_f16 v56, v58, s16, v56
	v_sub_f16_e32 v62, v27, v25
	v_fma_f16 v61, v58, s15, v23
	v_fma_f16 v60, v59, s14, v60
	;; [unrolled: 1-line block ×3, first 2 shown]
	v_sub_f16_e32 v59, v29, v31
	v_fma_f16 v23, v58, s4, v23
	v_add_f16_e32 v59, v62, v59
	v_fma_f16 v23, v57, s16, v23
	v_fma_f16 v61, v57, s5, v61
	;; [unrolled: 1-line block ×3, first 2 shown]
	v_add_f16_e32 v23, v43, v45
	v_add_f16_e32 v23, v23, v47
	;; [unrolled: 1-line block ×7, first 2 shown]
	v_fma_f16 v23, v23, -0.5, v43
	v_sub_f16_e32 v25, v25, v31
	v_add_f16_e32 v55, v55, v31
	v_fma_f16 v31, v25, s15, v23
	v_sub_f16_e32 v27, v27, v29
	v_fma_f16 v61, v59, s14, v61
	v_fma_f16 v29, v27, s16, v31
	v_sub_f16_e32 v31, v45, v47
	v_sub_f16_e32 v59, v51, v49
	v_fma_f16 v23, v25, s4, v23
	v_add_f16_e32 v31, v31, v59
	v_fma_f16 v23, v27, s5, v23
	v_fma_f16 v62, v31, s14, v23
	v_add_f16_e32 v23, v45, v51
	v_fma_f16 v23, v23, -0.5, v43
	v_fma_f16 v59, v31, s14, v29
	v_fma_f16 v29, v27, s4, v23
	v_sub_f16_e32 v31, v47, v45
	v_sub_f16_e32 v43, v49, v51
	v_fma_f16 v23, v27, s15, v23
	v_mul_f16_sdwa v63, v48, v12 dst_sel:DWORD dst_unused:UNUSED_PAD src0_sel:DWORD src1_sel:WORD_1
	v_add_f16_e32 v31, v31, v43
	v_fma_f16 v23, v25, s5, v23
	v_mul_f16_sdwa v64, v28, v12 dst_sel:DWORD dst_unused:UNUSED_PAD src0_sel:DWORD src1_sel:WORD_1
	v_mul_f16_sdwa v67, v50, v14 dst_sel:DWORD dst_unused:UNUSED_PAD src0_sel:DWORD src1_sel:WORD_1
	v_fma_f16 v28, v28, v12, -v63
	v_fma_f16 v47, v31, s14, v23
	v_add_f16_e32 v23, v24, v26
	v_mul_f16_sdwa v68, v30, v14 dst_sel:DWORD dst_unused:UNUSED_PAD src0_sel:DWORD src1_sel:WORD_1
	s_waitcnt vmcnt(0)
	v_mul_f16_sdwa v71, v53, v38 dst_sel:DWORD dst_unused:UNUSED_PAD src0_sel:DWORD src1_sel:WORD_1
	v_fma_f16 v30, v30, v14, -v67
	v_add_f16_e32 v23, v23, v28
	v_mul_f16_sdwa v72, v32, v38 dst_sel:DWORD dst_unused:UNUSED_PAD src0_sel:DWORD src1_sel:WORD_1
	v_fma_f16 v32, v32, v38, -v71
	v_add_f16_e32 v23, v23, v30
	v_fma_f16 v53, v53, v38, v72
	v_fma_f16 v29, v25, s16, v29
	v_add_f16_e32 v25, v23, v32
	v_add_f16_e32 v23, v28, v30
	v_fma_f16 v48, v48, v12, v64
	v_fma_f16 v50, v50, v14, v68
	v_fma_f16 v23, v23, -0.5, v24
	v_sub_f16_e32 v27, v46, v53
	v_fma_f16 v45, v31, s14, v29
	v_fma_f16 v29, v27, s4, v23
	v_sub_f16_e32 v31, v48, v50
	v_sub_f16_e32 v43, v26, v28
	;; [unrolled: 1-line block ×3, first 2 shown]
	v_fma_f16 v23, v27, s15, v23
	v_add_f16_e32 v43, v43, v49
	v_fma_f16 v23, v31, s16, v23
	v_fma_f16 v49, v43, s14, v23
	v_add_f16_e32 v23, v26, v32
	v_fma_f16 v29, v31, s5, v29
	v_fma_f16 v23, v23, -0.5, v24
	v_fma_f16 v29, v43, s14, v29
	v_fma_f16 v24, v31, s15, v23
	v_sub_f16_e32 v43, v28, v26
	v_sub_f16_e32 v51, v30, v32
	v_fma_f16 v23, v31, s4, v23
	v_add_f16_e32 v43, v43, v51
	v_fma_f16 v23, v27, s16, v23
	v_fma_f16 v63, v43, s14, v23
	v_add_f16_e32 v23, v44, v46
	v_add_f16_e32 v23, v23, v48
	;; [unrolled: 1-line block ×3, first 2 shown]
	v_fma_f16 v24, v27, s5, v24
	v_add_f16_e32 v64, v23, v53
	v_add_f16_e32 v23, v48, v50
	v_fma_f16 v51, v43, s14, v24
	v_fma_f16 v23, v23, -0.5, v44
	v_sub_f16_e32 v24, v26, v32
	v_fma_f16 v26, v24, s15, v23
	v_sub_f16_e32 v27, v28, v30
	v_sub_f16_e32 v28, v46, v48
	;; [unrolled: 1-line block ×3, first 2 shown]
	v_fma_f16 v23, v24, s4, v23
	v_fma_f16 v26, v27, s16, v26
	v_add_f16_e32 v28, v28, v30
	v_fma_f16 v23, v27, s5, v23
	v_fma_f16 v26, v28, s14, v26
	;; [unrolled: 1-line block ×3, first 2 shown]
	v_add_f16_e32 v23, v46, v53
	v_fma_f16 v23, v23, -0.5, v44
	v_fma_f16 v30, v27, s4, v23
	v_sub_f16_e32 v31, v48, v46
	v_sub_f16_e32 v32, v50, v53
	v_fma_f16 v30, v24, s16, v30
	v_add_f16_e32 v31, v31, v32
	v_fma_f16 v23, v27, s15, v23
	v_fma_f16 v30, v31, s14, v30
	;; [unrolled: 1-line block ×3, first 2 shown]
	v_mul_f16_e32 v24, 0x38b4, v26
	v_fma_f16 v46, v29, s17, v24
	v_mul_f16_e32 v27, 0x3b9c, v30
	v_mul_f16_e32 v29, 0xb8b4, v29
	v_fma_f16 v44, v31, s14, v23
	v_fma_f16 v65, v51, s14, v27
	v_mul_f16_e32 v27, 0x34f2, v63
	v_fma_f16 v68, v26, s17, v29
	v_mul_f16_e32 v26, 0xbb9c, v51
	v_fma_f16 v66, v44, s4, -v27
	v_mul_f16_e32 v27, 0x3a79, v49
	v_fma_f16 v69, v30, s14, v26
	v_mul_f16_e32 v26, 0x34f2, v44
	v_add_f16_e32 v23, v55, v25
	v_add_f16_e32 v24, v60, v46
	v_fma_f16 v67, v28, s5, -v27
	v_add_f16_e32 v43, v58, v64
	v_add_f16_e32 v53, v59, v68
	v_fma_f16 v63, v63, s15, -v26
	v_mul_f16_e32 v26, 0x3a79, v28
	v_add_f16_e32 v31, v61, v65
	v_add_f16_e32 v32, v57, v66
	;; [unrolled: 1-line block ×5, first 2 shown]
	v_fma_f16 v49, v49, s16, -v26
	v_sub_f16_e32 v28, v55, v25
	v_sub_f16_e32 v30, v56, v67
	v_pack_b32_f16 v55, v23, v43
	v_pack_b32_f16 v56, v24, v53
	v_add_f16_e32 v48, v62, v49
	v_sub_f16_e32 v25, v60, v46
	v_sub_f16_e32 v46, v58, v64
	ds_write2_b32 v33, v55, v56 offset1:143
	v_pack_b32_f16 v55, v31, v51
	v_pack_b32_f16 v56, v32, v50
	v_sub_f16_e32 v26, v61, v65
	v_sub_f16_e32 v44, v59, v68
	;; [unrolled: 1-line block ×3, first 2 shown]
	ds_write2_b32 v21, v55, v56 offset0:30 offset1:173
	v_pack_b32_f16 v55, v27, v48
	v_pack_b32_f16 v56, v28, v46
	v_sub_f16_e32 v29, v57, v66
	v_sub_f16_e32 v47, v47, v63
	;; [unrolled: 1-line block ×3, first 2 shown]
	ds_write2_b32 v42, v55, v56 offset0:60 offset1:203
	v_pack_b32_f16 v55, v25, v44
	v_pack_b32_f16 v56, v26, v45
	ds_write2_b32 v52, v55, v56 offset0:90 offset1:233
	v_pack_b32_f16 v55, v29, v47
	v_pack_b32_f16 v56, v30, v49
	ds_write2_b32 v54, v55, v56 offset0:56 offset1:199
	s_waitcnt lgkmcnt(0)
	s_barrier
	s_and_saveexec_b64 s[4:5], s[0:1]
	s_cbranch_execz .LBB0_13
; %bb.12:
	v_mov_b32_e32 v54, s7
	v_add_co_u32_e32 v58, vcc, s6, v33
	v_addc_co_u32_e32 v59, vcc, 0, v54, vcc
	v_add_co_u32_e32 v54, vcc, 0x1658, v58
	v_addc_co_u32_e32 v55, vcc, 0, v59, vcc
	;; [unrolled: 2-line block ×3, first 2 shown]
	global_load_dword v60, v[56:57], off offset:1624
	global_load_dword v64, v[54:55], off offset:440
	;; [unrolled: 1-line block ×9, first 2 shown]
	s_movk_i32 s14, 0x2000
	v_add_co_u32_e32 v56, vcc, s14, v58
	v_addc_co_u32_e32 v57, vcc, 0, v59, vcc
	global_load_dword v72, v[56:57], off offset:1928
	global_load_dword v73, v[56:57], off offset:2368
	;; [unrolled: 1-line block ×4, first 2 shown]
	ds_read_b32 v54, v33
	v_add_u32_e32 v76, 0xe00, v33
	s_waitcnt lgkmcnt(0)
	v_lshrrev_b32_e32 v55, 16, v54
	s_waitcnt vmcnt(12)
	v_mul_f16_sdwa v56, v55, v60 dst_sel:DWORD dst_unused:UNUSED_PAD src0_sel:DWORD src1_sel:WORD_1
	v_mul_f16_sdwa v57, v54, v60 dst_sel:DWORD dst_unused:UNUSED_PAD src0_sel:DWORD src1_sel:WORD_1
	v_fma_f16 v54, v54, v60, -v56
	v_fma_f16 v55, v55, v60, v57
	v_pack_b32_f16 v54, v54, v55
	ds_write_b32 v33, v54
	ds_read2_b32 v[54:55], v33 offset0:110 offset1:220
	ds_read2_b32 v[56:57], v21 offset0:74 offset1:184
	;; [unrolled: 1-line block ×5, first 2 shown]
	s_waitcnt lgkmcnt(4)
	v_lshrrev_b32_e32 v77, 16, v54
	s_waitcnt vmcnt(11)
	v_mul_f16_sdwa v78, v54, v64 dst_sel:DWORD dst_unused:UNUSED_PAD src0_sel:DWORD src1_sel:WORD_1
	v_lshrrev_b32_e32 v79, 16, v55
	s_waitcnt vmcnt(10)
	v_mul_f16_sdwa v80, v55, v65 dst_sel:DWORD dst_unused:UNUSED_PAD src0_sel:DWORD src1_sel:WORD_1
	s_waitcnt lgkmcnt(3)
	v_lshrrev_b32_e32 v81, 16, v56
	s_waitcnt vmcnt(9)
	v_mul_f16_sdwa v82, v56, v66 dst_sel:DWORD dst_unused:UNUSED_PAD src0_sel:DWORD src1_sel:WORD_1
	v_lshrrev_b32_e32 v83, 16, v57
	s_waitcnt vmcnt(8)
	v_mul_f16_sdwa v84, v57, v67 dst_sel:DWORD dst_unused:UNUSED_PAD src0_sel:DWORD src1_sel:WORD_1
	s_waitcnt lgkmcnt(2)
	v_lshrrev_b32_e32 v85, 16, v58
	s_waitcnt vmcnt(7)
	v_mul_f16_sdwa v86, v58, v68 dst_sel:DWORD dst_unused:UNUSED_PAD src0_sel:DWORD src1_sel:WORD_1
	v_lshrrev_b32_e32 v87, 16, v59
	s_waitcnt vmcnt(6)
	v_mul_f16_sdwa v88, v59, v69 dst_sel:DWORD dst_unused:UNUSED_PAD src0_sel:DWORD src1_sel:WORD_1
	s_waitcnt lgkmcnt(1)
	v_lshrrev_b32_e32 v89, 16, v60
	s_waitcnt vmcnt(5)
	v_mul_f16_sdwa v90, v60, v70 dst_sel:DWORD dst_unused:UNUSED_PAD src0_sel:DWORD src1_sel:WORD_1
	v_lshrrev_b32_e32 v91, 16, v61
	v_mul_f16_sdwa v93, v77, v64 dst_sel:DWORD dst_unused:UNUSED_PAD src0_sel:DWORD src1_sel:WORD_1
	v_fma_f16 v77, v77, v64, v78
	v_mul_f16_sdwa v78, v79, v65 dst_sel:DWORD dst_unused:UNUSED_PAD src0_sel:DWORD src1_sel:WORD_1
	s_waitcnt vmcnt(4)
	v_mul_f16_sdwa v92, v61, v71 dst_sel:DWORD dst_unused:UNUSED_PAD src0_sel:DWORD src1_sel:WORD_1
	v_fma_f16 v79, v79, v65, v80
	v_mul_f16_sdwa v80, v81, v66 dst_sel:DWORD dst_unused:UNUSED_PAD src0_sel:DWORD src1_sel:WORD_1
	v_fma_f16 v81, v81, v66, v82
	;; [unrolled: 2-line block ×6, first 2 shown]
	v_mul_f16_sdwa v90, v91, v71 dst_sel:DWORD dst_unused:UNUSED_PAD src0_sel:DWORD src1_sel:WORD_1
	v_fma_f16 v54, v54, v64, -v93
	v_fma_f16 v55, v55, v65, -v78
	v_fma_f16 v91, v91, v71, v92
	v_fma_f16 v56, v56, v66, -v80
	v_fma_f16 v57, v57, v67, -v82
	v_fma_f16 v58, v58, v68, -v84
	v_fma_f16 v59, v59, v69, -v86
	v_fma_f16 v60, v60, v70, -v88
	v_fma_f16 v61, v61, v71, -v90
	v_pack_b32_f16 v54, v54, v77
	v_pack_b32_f16 v55, v55, v79
	;; [unrolled: 1-line block ×8, first 2 shown]
	ds_write2_b32 v33, v54, v55 offset0:110 offset1:220
	ds_write2_b32 v21, v56, v57 offset0:74 offset1:184
	;; [unrolled: 1-line block ×4, first 2 shown]
	s_waitcnt lgkmcnt(4)
	v_lshrrev_b32_e32 v21, 16, v62
	s_waitcnt vmcnt(0)
	v_mul_f16_sdwa v42, v21, v75 dst_sel:DWORD dst_unused:UNUSED_PAD src0_sel:DWORD src1_sel:WORD_1
	v_mul_f16_sdwa v52, v62, v75 dst_sel:DWORD dst_unused:UNUSED_PAD src0_sel:DWORD src1_sel:WORD_1
	v_add_u32_e32 v56, 0x1200, v33
	v_fma_f16 v42, v62, v75, -v42
	v_fma_f16 v21, v21, v75, v52
	ds_read2_b32 v[54:55], v56 offset0:58 offset1:168
	v_pack_b32_f16 v21, v42, v21
	v_lshrrev_b32_e32 v42, 16, v63
	v_mul_f16_sdwa v52, v42, v72 dst_sel:DWORD dst_unused:UNUSED_PAD src0_sel:DWORD src1_sel:WORD_1
	v_mul_f16_sdwa v57, v63, v72 dst_sel:DWORD dst_unused:UNUSED_PAD src0_sel:DWORD src1_sel:WORD_1
	v_fma_f16 v52, v63, v72, -v52
	v_fma_f16 v42, v42, v72, v57
	v_pack_b32_f16 v42, v52, v42
	ds_write2_b32 v76, v21, v42 offset0:94 offset1:204
	s_waitcnt lgkmcnt(1)
	v_lshrrev_b32_e32 v21, 16, v54
	v_mul_f16_sdwa v42, v21, v73 dst_sel:DWORD dst_unused:UNUSED_PAD src0_sel:DWORD src1_sel:WORD_1
	v_mul_f16_sdwa v52, v54, v73 dst_sel:DWORD dst_unused:UNUSED_PAD src0_sel:DWORD src1_sel:WORD_1
	v_fma_f16 v42, v54, v73, -v42
	v_fma_f16 v21, v21, v73, v52
	v_pack_b32_f16 v21, v42, v21
	v_lshrrev_b32_e32 v42, 16, v55
	v_mul_f16_sdwa v52, v42, v74 dst_sel:DWORD dst_unused:UNUSED_PAD src0_sel:DWORD src1_sel:WORD_1
	v_mul_f16_sdwa v54, v55, v74 dst_sel:DWORD dst_unused:UNUSED_PAD src0_sel:DWORD src1_sel:WORD_1
	v_fma_f16 v52, v55, v74, -v52
	v_fma_f16 v42, v42, v74, v54
	v_pack_b32_f16 v42, v52, v42
	ds_write2_b32 v56, v21, v42 offset0:58 offset1:168
.LBB0_13:
	s_or_b64 exec, exec, s[4:5]
	s_waitcnt lgkmcnt(0)
	s_barrier
	s_and_saveexec_b64 s[4:5], s[0:1]
	s_cbranch_execz .LBB0_15
; %bb.14:
	v_add_u32_e32 v19, 0x200, v33
	ds_read2_b32 v[31:32], v19 offset0:92 offset1:202
	v_add_u32_e32 v19, 0xa00, v33
	ds_read2_b32 v[25:26], v19 offset0:20 offset1:130
	v_add_u32_e32 v19, 0xc00, v33
	v_add_u32_e32 v20, 0x600, v33
	ds_read2_b32 v[29:30], v19 offset0:112 offset1:222
	v_add_u32_e32 v19, 0x1000, v33
	ds_read2_b32 v[23:24], v33 offset1:110
	ds_read2_b32 v[27:28], v20 offset0:56 offset1:166
	ds_read2_b32 v[19:20], v19 offset0:76 offset1:186
	ds_read_b32 v39, v33 offset:5280
	s_waitcnt lgkmcnt(6)
	v_lshrrev_b32_e32 v51, 16, v31
	s_waitcnt lgkmcnt(3)
	v_lshrrev_b32_e32 v43, 16, v23
	v_lshrrev_b32_e32 v53, 16, v24
	;; [unrolled: 1-line block ×3, first 2 shown]
	s_waitcnt lgkmcnt(2)
	v_lshrrev_b32_e32 v48, 16, v27
	v_lshrrev_b32_e32 v46, 16, v28
	;; [unrolled: 1-line block ×6, first 2 shown]
	s_waitcnt lgkmcnt(1)
	v_lshrrev_b32_e32 v41, 16, v19
	v_lshrrev_b32_e32 v22, 16, v20
	s_waitcnt lgkmcnt(0)
	v_lshrrev_b32_e32 v40, 16, v39
.LBB0_15:
	s_or_b64 exec, exec, s[4:5]
	v_add_f16_e32 v21, v24, v23
	v_add_f16_e32 v42, v53, v43
	;; [unrolled: 1-line block ×21, first 2 shown]
	v_sub_f16_e32 v56, v53, v40
	v_add_f16_e32 v42, v22, v42
	v_add_f16_e32 v21, v39, v21
	;; [unrolled: 1-line block ×3, first 2 shown]
	v_sub_f16_e32 v24, v24, v39
	s_movk_i32 s18, 0x3b15
	v_mul_f16_e32 v39, 0xb770, v56
	v_add_f16_e32 v42, v40, v42
	v_add_f16_e32 v55, v40, v53
	v_fma_f16 v40, v54, s18, v39
	v_add_f16_e32 v57, v23, v40
	v_mul_f16_e32 v40, 0xb770, v24
	v_fma_f16 v52, v55, s18, -v40
	v_add_f16_e32 v60, v43, v52
	s_movk_i32 s15, 0x388b
	v_mul_f16_e32 v52, 0xba95, v56
	v_fma_f16 v53, v54, s15, v52
	v_add_f16_e32 v61, v23, v53
	v_mul_f16_e32 v53, 0xba95, v24
	v_fma_f16 v58, v55, s15, -v53
	v_add_f16_e32 v62, v43, v58
	v_mul_f16_e32 v58, 0xbbf1, v56
	s_movk_i32 s5, 0x2fb7
	v_fma_f16 v59, v54, s5, v58
	s_mov_b32 s4, 0xbbf1
	v_add_f16_e32 v63, v23, v59
	v_mul_f16_e32 v59, 0x2fb7, v55
	v_fma_f16 v58, v54, s5, -v58
	v_add_f16_e32 v65, v23, v58
	v_fma_f16 v58, v24, s4, v59
	s_movk_i32 s14, 0x3bf1
	v_add_f16_e32 v66, v43, v58
	v_mul_f16_e32 v58, 0xbb7b, v56
	s_mov_b32 s19, 0xb5ac
	v_fma_f16 v64, v24, s14, v59
	v_fma_f16 v59, v54, s19, v58
	s_mov_b32 s17, 0xbb7b
	v_add_f16_e32 v67, v23, v59
	v_mul_f16_e32 v59, 0xb5ac, v55
	v_fma_f16 v58, v54, s19, -v58
	v_add_f16_e32 v69, v23, v58
	v_fma_f16 v58, v24, s17, v59
	s_movk_i32 s20, 0x3b7b
	v_add_f16_e32 v70, v43, v58
	v_mul_f16_e32 v58, 0xb94e, v56
	s_mov_b32 s23, 0xb9fd
	v_fma_f16 v68, v24, s20, v59
	v_fma_f16 v59, v54, s23, v58
	s_mov_b32 s22, 0xb94e
	v_add_f16_e32 v71, v23, v59
	v_mul_f16_e32 v59, 0xb9fd, v55
	v_fma_f16 v58, v54, s23, -v58
	v_add_f16_e32 v73, v23, v58
	v_fma_f16 v58, v24, s22, v59
	v_mul_f16_e32 v56, 0xb3a8, v56
	s_mov_b32 s25, 0xbbc4
	v_add_f16_e32 v74, v43, v58
	v_fma_f16 v58, v54, s25, v56
	s_movk_i32 s24, 0x394e
	v_add_f16_e32 v75, v23, v58
	v_mul_f16_e32 v58, 0xbbc4, v55
	s_movk_i32 s27, 0x33a8
	v_fma_f16 v72, v24, s24, v59
	v_fma_f16 v59, v24, s27, v58
	s_mov_b32 s26, 0xb3a8
	v_add_f16_e32 v76, v43, v59
	v_add_f16_e32 v59, v22, v51
	v_sub_f16_e32 v22, v51, v22
	v_fma_f16 v24, v24, s26, v58
	v_add_f16_e32 v58, v20, v31
	v_sub_f16_e32 v20, v31, v20
	v_mul_f16_e32 v31, 0xba95, v22
	v_fma_f16 v51, v58, s15, v31
	v_fma_f16 v56, v54, s25, -v56
	v_add_f16_e32 v78, v51, v57
	v_mul_f16_e32 v51, 0xba95, v20
	v_add_f16_e32 v77, v23, v56
	v_fma_f16 v56, v59, s15, -v51
	v_add_f16_e32 v60, v56, v60
	v_mul_f16_e32 v56, 0xbb7b, v22
	v_fma_f16 v57, v58, s19, v56
	v_add_f16_e32 v61, v57, v61
	v_mul_f16_e32 v57, 0xbb7b, v20
	v_fma_f16 v79, v59, s19, -v57
	v_add_f16_e32 v79, v79, v62
	v_mul_f16_e32 v62, 0xb3a8, v22
	v_fma_f16 v80, v58, s25, v62
	v_add_f16_e32 v80, v80, v63
	v_mul_f16_e32 v63, 0xbbc4, v59
	v_fma_f16 v62, v58, s25, -v62
	v_add_f16_e32 v65, v62, v65
	v_fma_f16 v62, v20, s26, v63
	v_add_f16_e32 v66, v62, v66
	v_mul_f16_e32 v62, 0x394e, v22
	v_fma_f16 v81, v20, s27, v63
	v_fma_f16 v63, v58, s23, v62
	v_add_f16_e32 v67, v63, v67
	v_mul_f16_e32 v63, 0xb9fd, v59
	v_fma_f16 v62, v58, s23, -v62
	v_add_f16_e32 v69, v62, v69
	v_fma_f16 v62, v20, s24, v63
	v_add_f16_e32 v64, v43, v64
	v_add_f16_e32 v70, v62, v70
	v_mul_f16_e32 v62, 0x3bf1, v22
	v_add_f16_e32 v64, v81, v64
	v_fma_f16 v81, v20, s22, v63
	v_fma_f16 v63, v58, s5, v62
	v_add_f16_e32 v71, v63, v71
	v_mul_f16_e32 v63, 0x2fb7, v59
	v_fma_f16 v62, v58, s5, -v62
	v_add_f16_e32 v73, v62, v73
	v_fma_f16 v62, v20, s14, v63
	v_mul_f16_e32 v22, 0x3770, v22
	v_add_f16_e32 v74, v62, v74
	v_fma_f16 v62, v58, s18, v22
	s_mov_b32 s21, 0xb770
	v_add_f16_e32 v68, v43, v68
	s_movk_i32 s28, 0x3770
	v_add_f16_e32 v75, v62, v75
	v_mul_f16_e32 v62, 0x3b15, v59
	v_add_f16_e32 v24, v43, v24
	v_add_f16_e32 v68, v81, v68
	v_fma_f16 v81, v20, s4, v63
	v_fma_f16 v63, v20, s21, v62
	;; [unrolled: 1-line block ×3, first 2 shown]
	v_add_f16_e32 v62, v19, v32
	v_sub_f16_e32 v19, v32, v19
	v_add_f16_e32 v76, v63, v76
	v_fma_f16 v22, v58, s18, -v22
	v_add_f16_e32 v20, v20, v24
	v_add_f16_e32 v63, v41, v50
	v_sub_f16_e32 v24, v50, v41
	v_mul_f16_e32 v50, 0xbbf1, v19
	v_add_f16_e32 v22, v22, v77
	v_mul_f16_e32 v41, 0xbbf1, v24
	v_fma_f16 v77, v63, s5, -v50
	v_fma_f16 v32, v62, s5, v41
	v_add_f16_e32 v77, v77, v60
	v_mul_f16_e32 v60, 0xb3a8, v24
	v_add_f16_e32 v32, v32, v78
	v_fma_f16 v78, v62, s25, v60
	v_add_f16_e32 v72, v43, v72
	v_add_f16_e32 v78, v78, v61
	v_mul_f16_e32 v61, 0xb3a8, v19
	v_add_f16_e32 v72, v81, v72
	v_fma_f16 v81, v63, s25, -v61
	v_add_f16_e32 v79, v81, v79
	v_mul_f16_e32 v81, 0x3b7b, v24
	v_fma_f16 v82, v62, s19, v81
	v_add_f16_e32 v80, v82, v80
	v_mul_f16_e32 v82, 0xb5ac, v63
	v_fma_f16 v83, v19, s17, v82
	v_add_f16_e32 v83, v83, v64
	v_fma_f16 v64, v62, s19, -v81
	v_add_f16_e32 v65, v64, v65
	v_fma_f16 v64, v19, s20, v82
	v_add_f16_e32 v66, v64, v66
	v_mul_f16_e32 v64, 0x3770, v24
	v_fma_f16 v81, v62, s18, v64
	v_add_f16_e32 v67, v81, v67
	v_mul_f16_e32 v81, 0x3b15, v63
	v_fma_f16 v64, v62, s18, -v64
	v_add_f16_e32 v84, v64, v69
	v_fma_f16 v64, v19, s28, v81
	v_fma_f16 v82, v19, s21, v81
	v_add_f16_e32 v81, v64, v70
	v_mul_f16_e32 v64, 0xba95, v24
	v_add_f16_e32 v82, v82, v68
	v_fma_f16 v68, v62, s15, v64
	s_mov_b32 s16, 0xba95
	v_add_f16_e32 v85, v68, v71
	v_mul_f16_e32 v68, 0x388b, v63
	v_fma_f16 v64, v62, s15, -v64
	v_add_f16_e32 v73, v64, v73
	v_fma_f16 v64, v19, s16, v68
	v_mul_f16_e32 v24, 0xb94e, v24
	v_add_f16_e32 v74, v64, v74
	v_fma_f16 v64, v62, s23, v24
	s_movk_i32 s29, 0x3a95
	v_add_f16_e32 v75, v64, v75
	v_mul_f16_e32 v64, 0xb9fd, v63
	v_fma_f16 v69, v19, s29, v68
	v_fma_f16 v68, v19, s24, v64
	;; [unrolled: 1-line block ×3, first 2 shown]
	v_fma_f16 v24, v62, s23, -v24
	v_add_f16_e32 v19, v19, v20
	v_sub_f16_e32 v20, v27, v30
	v_add_f16_e32 v86, v69, v72
	v_add_f16_e32 v76, v68, v76
	;; [unrolled: 1-line block ×4, first 2 shown]
	v_sub_f16_e32 v24, v48, v49
	v_mul_f16_e32 v68, 0xbb7b, v20
	v_add_f16_e32 v71, v30, v27
	v_fma_f16 v30, v72, s19, -v68
	v_mul_f16_e32 v70, 0x394e, v20
	v_mul_f16_e32 v49, 0x3770, v24
	v_add_f16_e32 v30, v30, v77
	v_fma_f16 v48, v72, s23, -v70
	v_fma_f16 v77, v71, s18, v49
	v_mul_f16_e32 v64, 0xbb7b, v24
	v_add_f16_e32 v48, v48, v79
	v_add_f16_e32 v79, v77, v80
	v_mul_f16_e32 v77, 0x3b15, v72
	v_fma_f16 v49, v71, s18, -v49
	v_fma_f16 v27, v71, s19, v64
	v_mul_f16_e32 v69, 0x394e, v24
	v_add_f16_e32 v49, v49, v65
	v_fma_f16 v65, v20, s28, v77
	v_add_f16_e32 v27, v27, v32
	v_fma_f16 v32, v71, s23, v69
	v_add_f16_e32 v65, v65, v66
	v_mul_f16_e32 v66, 0xbbf1, v24
	v_add_f16_e32 v32, v32, v78
	v_fma_f16 v78, v20, s21, v77
	v_fma_f16 v77, v71, s5, v66
	v_add_f16_e32 v67, v77, v67
	v_mul_f16_e32 v77, 0x2fb7, v72
	v_add_f16_e32 v80, v78, v83
	v_fma_f16 v78, v20, s14, v77
	;; [unrolled: 5-line block ×3, first 2 shown]
	v_fma_f16 v66, v71, s5, -v66
	v_add_f16_e32 v83, v78, v85
	v_mul_f16_e32 v78, 0xbbc4, v72
	v_fma_f16 v77, v71, s25, -v77
	v_add_f16_e32 v66, v66, v84
	v_fma_f16 v84, v20, s26, v78
	v_add_f16_e32 v85, v77, v73
	v_fma_f16 v73, v20, s27, v78
	v_mul_f16_e32 v24, 0x3a95, v24
	v_add_f16_e32 v84, v84, v86
	v_add_f16_e32 v86, v73, v74
	v_fma_f16 v73, v71, s15, v24
	v_fma_f16 v24, v71, s15, -v24
	v_add_f16_e32 v87, v73, v75
	v_mul_f16_e32 v73, 0x388b, v72
	v_add_f16_e32 v22, v24, v22
	v_sub_f16_e32 v24, v46, v47
	v_fma_f16 v74, v20, s16, v73
	v_fma_f16 v20, v20, s29, v73
	v_add_f16_e32 v77, v29, v28
	v_mul_f16_e32 v75, 0x3bf1, v24
	v_add_f16_e32 v19, v20, v19
	v_sub_f16_e32 v20, v28, v29
	v_fma_f16 v29, v77, s5, v75
	v_add_f16_e32 v29, v29, v32
	v_mul_f16_e32 v32, 0xba95, v24
	v_add_f16_e32 v78, v47, v46
	v_mul_f16_e32 v73, 0xb94e, v24
	v_fma_f16 v46, v77, s15, v32
	v_add_f16_e32 v88, v74, v76
	v_fma_f16 v28, v77, s23, v73
	v_mul_f16_e32 v74, 0xb94e, v20
	v_add_f16_e32 v47, v46, v79
	v_mul_f16_e32 v46, 0x388b, v78
	v_fma_f16 v32, v77, s15, -v32
	v_add_f16_e32 v27, v28, v27
	v_fma_f16 v28, v78, s23, -v74
	v_mul_f16_e32 v76, 0x3bf1, v20
	v_add_f16_e32 v49, v32, v49
	v_fma_f16 v32, v20, s16, v46
	v_add_f16_e32 v28, v28, v30
	v_fma_f16 v30, v78, s5, -v76
	v_add_f16_e32 v65, v32, v65
	v_mul_f16_e32 v32, 0x33a8, v24
	v_add_f16_e32 v30, v30, v48
	v_fma_f16 v48, v20, s29, v46
	v_fma_f16 v46, v77, s25, v32
	v_add_f16_e32 v89, v46, v67
	v_mul_f16_e32 v46, 0xbbc4, v78
	v_fma_f16 v32, v77, s25, -v32
	v_add_f16_e32 v91, v32, v66
	v_fma_f16 v32, v20, s27, v46
	v_add_f16_e32 v92, v32, v81
	v_mul_f16_e32 v32, 0x3770, v24
	v_fma_f16 v67, v20, s26, v46
	v_fma_f16 v46, v77, s18, v32
	v_add_f16_e32 v93, v46, v83
	v_mul_f16_e32 v46, 0x3b15, v78
	v_fma_f16 v32, v77, s18, -v32
	v_add_f16_e32 v85, v32, v85
	v_fma_f16 v32, v20, s28, v46
	v_mul_f16_e32 v24, 0xbb7b, v24
	v_add_f16_e32 v86, v32, v86
	v_fma_f16 v32, v77, s19, v24
	v_add_f16_e32 v90, v67, v82
	v_add_f16_e32 v87, v32, v87
	v_mul_f16_e32 v32, 0xb5ac, v78
	v_add_f16_e32 v82, v26, v25
	v_sub_f16_e32 v97, v25, v26
	v_sub_f16_e32 v26, v44, v45
	v_fma_f16 v66, v20, s21, v46
	v_fma_f16 v46, v20, s20, v32
	;; [unrolled: 1-line block ×3, first 2 shown]
	v_mul_f16_e32 v79, 0xb3a8, v26
	v_add_f16_e32 v48, v48, v80
	v_fma_f16 v24, v77, s19, -v24
	v_add_f16_e32 v96, v20, v19
	v_add_f16_e32 v83, v45, v44
	v_fma_f16 v19, v82, s25, v79
	v_mul_f16_e32 v80, 0xb3a8, v97
	v_add_f16_e32 v95, v24, v22
	v_add_f16_e32 v22, v19, v27
	v_fma_f16 v19, v83, s25, -v80
	v_mul_f16_e32 v81, 0x3770, v26
	v_add_f16_e32 v94, v66, v84
	v_add_f16_e32 v88, v46, v88
	;; [unrolled: 1-line block ×3, first 2 shown]
	v_fma_f16 v19, v82, s18, v81
	v_mul_f16_e32 v84, 0x3770, v97
	v_add_f16_e32 v24, v19, v29
	v_fma_f16 v19, v83, s18, -v84
	v_add_f16_e32 v45, v19, v30
	v_mul_f16_e32 v19, 0xb94e, v26
	v_fma_f16 v20, v82, s23, v19
	v_add_f16_e32 v25, v20, v47
	v_mul_f16_e32 v20, 0xb9fd, v83
	v_fma_f16 v19, v82, s23, -v19
	v_fma_f16 v27, v97, s24, v20
	v_add_f16_e32 v66, v19, v49
	v_fma_f16 v19, v97, s22, v20
	v_mul_f16_e32 v20, 0x3a95, v26
	v_add_f16_e32 v32, v27, v48
	v_add_f16_e32 v67, v19, v65
	v_fma_f16 v19, v82, s15, v20
	v_mul_f16_e32 v27, 0x388b, v83
	v_fma_f16 v20, v82, s15, -v20
	v_fma_f16 v28, v97, s16, v27
	v_add_f16_e32 v29, v20, v91
	v_fma_f16 v20, v97, s29, v27
	v_mul_f16_e32 v27, 0xbb7b, v26
	v_mul_f16_e32 v47, 0xb5ac, v83
	v_add_f16_e32 v30, v28, v90
	v_add_f16_e32 v65, v20, v92
	v_fma_f16 v20, v82, s19, v27
	v_fma_f16 v28, v97, s20, v47
	v_fma_f16 v27, v82, s19, -v27
	v_add_f16_e32 v44, v28, v94
	v_add_f16_e32 v28, v27, v85
	v_fma_f16 v27, v97, s17, v47
	v_add_f16_e32 v49, v27, v86
	v_mul_f16_e32 v27, 0x3bf1, v26
	v_mul_f16_e32 v48, 0x2fb7, v83
	v_fma_f16 v26, v82, s5, v27
	v_fma_f16 v47, v97, s4, v48
	v_fma_f16 v27, v82, s5, -v27
	v_fma_f16 v48, v97, s14, v48
	v_add_f16_e32 v19, v19, v89
	v_add_f16_e32 v20, v20, v93
	;; [unrolled: 1-line block ×6, first 2 shown]
	s_barrier
	s_and_saveexec_b64 s[4:5], s[0:1]
	s_cbranch_execz .LBB0_17
; %bb.16:
	v_mul_f16_e32 v85, 0x3b15, v54
	v_mul_f16_e32 v54, 0x388b, v54
	;; [unrolled: 1-line block ×3, first 2 shown]
	v_sub_f16_e32 v52, v54, v52
	v_sub_f16_e32 v39, v85, v39
	v_mul_f16_e32 v89, 0x2fb7, v62
	v_add_f16_e32 v52, v23, v52
	v_add_f16_e32 v23, v23, v39
	v_sub_f16_e32 v31, v87, v31
	v_mul_f16_e32 v91, 0xb5ac, v71
	v_add_f16_e32 v23, v31, v23
	v_sub_f16_e32 v31, v89, v41
	v_mul_f16_e32 v86, 0x3b15, v55
	v_mul_f16_e32 v55, 0x388b, v55
	v_mul_f16_e32 v93, 0xb9fd, v77
	v_add_f16_e32 v23, v31, v23
	v_sub_f16_e32 v31, v91, v64
	v_mul_f16_e32 v88, 0x388b, v59
	v_mul_f16_e32 v58, 0xb5ac, v58
	;; [unrolled: 1-line block ×4, first 2 shown]
	v_add_f16_e32 v53, v53, v55
	v_add_f16_e32 v40, v40, v86
	v_add_f16_e32 v23, v31, v23
	v_sub_f16_e32 v31, v93, v73
	v_mul_f16_e32 v90, 0x2fb7, v63
	v_mul_f16_e32 v62, 0xbbc4, v62
	;; [unrolled: 1-line block ×3, first 2 shown]
	v_add_f16_e32 v53, v43, v53
	v_add_f16_e32 v55, v57, v59
	v_sub_f16_e32 v54, v58, v56
	v_add_f16_e32 v40, v43, v40
	v_add_f16_e32 v43, v51, v88
	;; [unrolled: 1-line block ×3, first 2 shown]
	v_sub_f16_e32 v31, v95, v79
	s_mov_b32 s14, 0x5040100
	v_mul_f16_e32 v92, 0xb5ac, v72
	v_mul_f16_e32 v71, 0xb9fd, v71
	;; [unrolled: 1-line block ×3, first 2 shown]
	v_add_f16_e32 v53, v55, v53
	v_add_f16_e32 v55, v61, v63
	;; [unrolled: 1-line block ×3, first 2 shown]
	v_sub_f16_e32 v54, v62, v60
	v_add_f16_e32 v40, v43, v40
	v_add_f16_e32 v43, v50, v90
	;; [unrolled: 1-line block ×3, first 2 shown]
	v_lshlrev_b32_e32 v31, 2, v37
	v_perm_b32 v37, v46, v22, s14
	v_perm_b32 v39, v42, v21, s14
	v_mul_f16_e32 v94, 0xb9fd, v78
	v_mul_f16_e32 v77, 0x2fb7, v77
	;; [unrolled: 1-line block ×3, first 2 shown]
	v_add_f16_e32 v53, v55, v53
	v_add_f16_e32 v55, v70, v72
	;; [unrolled: 1-line block ×3, first 2 shown]
	v_sub_f16_e32 v54, v71, v69
	v_add_f16_e32 v40, v43, v40
	v_add_f16_e32 v43, v68, v92
	ds_write2_b32 v31, v39, v37 offset1:1
	v_perm_b32 v37, v32, v25, s14
	v_perm_b32 v39, v45, v24, s14
	v_mul_f16_e32 v96, 0xbbc4, v83
	v_mul_f16_e32 v82, 0x3b15, v82
	v_mul_f16_e32 v83, 0x3b15, v83
	v_add_f16_e32 v53, v55, v53
	v_add_f16_e32 v55, v76, v78
	;; [unrolled: 1-line block ×3, first 2 shown]
	v_sub_f16_e32 v54, v77, v75
	v_add_f16_e32 v40, v43, v40
	v_add_f16_e32 v43, v74, v94
	ds_write2_b32 v31, v39, v37 offset0:2 offset1:3
	v_perm_b32 v37, v44, v20, s14
	v_perm_b32 v39, v30, v19, s14
	v_add_f16_e32 v53, v55, v53
	v_add_f16_e32 v55, v84, v83
	;; [unrolled: 1-line block ×3, first 2 shown]
	v_sub_f16_e32 v54, v82, v81
	v_add_f16_e32 v40, v43, v40
	v_add_f16_e32 v43, v80, v96
	ds_write2_b32 v31, v39, v37 offset0:4 offset1:5
	v_perm_b32 v37, v48, v27, s14
	v_perm_b32 v39, v47, v26, s14
	v_add_f16_e32 v53, v55, v53
	v_add_f16_e32 v52, v54, v52
	;; [unrolled: 1-line block ×3, first 2 shown]
	ds_write2_b32 v31, v39, v37 offset0:6 offset1:7
	v_perm_b32 v37, v65, v29, s14
	v_perm_b32 v39, v49, v28, s14
	ds_write2_b32 v31, v39, v37 offset0:8 offset1:9
	v_pack_b32_f16 v37, v52, v53
	v_perm_b32 v39, v67, v66, s14
	v_pack_b32_f16 v23, v23, v40
	ds_write2_b32 v31, v39, v37 offset0:10 offset1:11
	ds_write_b32 v31, v23 offset:48
.LBB0_17:
	s_or_b64 exec, exec, s[4:5]
	s_waitcnt lgkmcnt(0)
	s_barrier
	s_and_saveexec_b64 s[4:5], s[2:3]
	s_cbranch_execz .LBB0_19
; %bb.18:
	v_add_u32_e32 v19, 0x400, v33
	v_add_u32_e32 v23, 0xc00, v33
	ds_read2_b32 v[24:25], v19 offset0:4 offset1:134
	v_add_u32_e32 v19, 0x800, v33
	ds_read2_b32 v[26:27], v23 offset0:12 offset1:142
	v_add_u32_e32 v23, 0x1000, v33
	ds_read2_b32 v[21:22], v33 offset1:130
	ds_read2_b32 v[19:20], v19 offset0:8 offset1:138
	ds_read2_b32 v[28:29], v23 offset0:16 offset1:146
	ds_read_b32 v66, v33 offset:5200
	s_waitcnt lgkmcnt(5)
	v_lshrrev_b32_e32 v45, 16, v24
	s_waitcnt lgkmcnt(3)
	v_lshrrev_b32_e32 v42, 16, v21
	v_lshrrev_b32_e32 v46, 16, v22
	;; [unrolled: 1-line block ×3, first 2 shown]
	s_waitcnt lgkmcnt(2)
	v_lshrrev_b32_e32 v30, 16, v19
	v_lshrrev_b32_e32 v44, 16, v20
	;; [unrolled: 1-line block ×4, first 2 shown]
	s_waitcnt lgkmcnt(1)
	v_lshrrev_b32_e32 v49, 16, v28
	v_lshrrev_b32_e32 v65, 16, v29
	s_waitcnt lgkmcnt(0)
	v_lshrrev_b32_e32 v67, 16, v66
.LBB0_19:
	s_or_b64 exec, exec, s[4:5]
	s_barrier
	s_and_saveexec_b64 s[4:5], s[2:3]
	s_cbranch_execz .LBB0_21
; %bb.20:
	v_mul_f16_sdwa v23, v0, v46 dst_sel:DWORD dst_unused:UNUSED_PAD src0_sel:WORD_1 src1_sel:DWORD
	v_mul_f16_sdwa v31, v18, v67 dst_sel:DWORD dst_unused:UNUSED_PAD src0_sel:WORD_1 src1_sel:DWORD
	v_fma_f16 v23, v0, v22, v23
	v_fma_f16 v31, v18, v66, v31
	v_mul_f16_sdwa v40, v18, v66 dst_sel:DWORD dst_unused:UNUSED_PAD src0_sel:WORD_1 src1_sel:DWORD
	v_mul_f16_sdwa v22, v0, v22 dst_sel:DWORD dst_unused:UNUSED_PAD src0_sel:WORD_1 src1_sel:DWORD
	;; [unrolled: 1-line block ×4, first 2 shown]
	v_sub_f16_e32 v37, v23, v31
	v_fma_f16 v18, v18, v67, -v40
	v_fma_f16 v0, v0, v46, -v22
	v_fma_f16 v41, v1, v24, v41
	v_fma_f16 v43, v17, v29, v43
	v_mul_f16_sdwa v29, v17, v29 dst_sel:DWORD dst_unused:UNUSED_PAD src0_sel:WORD_1 src1_sel:DWORD
	v_mul_f16_sdwa v24, v1, v24 dst_sel:DWORD dst_unused:UNUSED_PAD src0_sel:WORD_1 src1_sel:DWORD
	v_mul_f16_e32 v39, 0xb482, v37
	v_add_f16_e32 v22, v18, v0
	s_mov_b32 s2, 0xbbad
	v_sub_f16_e32 v46, v41, v43
	v_fma_f16 v17, v17, v65, -v29
	v_fma_f16 v1, v1, v45, -v24
	v_fma_f16 v40, v22, s2, v39
	v_mul_f16_e32 v50, 0x3853, v46
	v_add_f16_e32 v24, v17, v1
	s_movk_i32 s14, 0x3abb
	v_add_f16_e32 v40, v42, v40
	v_fma_f16 v29, v24, s14, v50
	v_add_f16_e32 v29, v29, v40
	v_mul_f16_sdwa v40, v2, v32 dst_sel:DWORD dst_unused:UNUSED_PAD src0_sel:WORD_1 src1_sel:DWORD
	v_mul_f16_sdwa v45, v7, v49 dst_sel:DWORD dst_unused:UNUSED_PAD src0_sel:WORD_1 src1_sel:DWORD
	v_fma_f16 v40, v2, v25, v40
	v_fma_f16 v45, v7, v28, v45
	v_mul_f16_sdwa v28, v7, v28 dst_sel:DWORD dst_unused:UNUSED_PAD src0_sel:WORD_1 src1_sel:DWORD
	v_mul_f16_sdwa v25, v2, v25 dst_sel:DWORD dst_unused:UNUSED_PAD src0_sel:WORD_1 src1_sel:DWORD
	v_sub_f16_e32 v51, v40, v45
	v_fma_f16 v7, v7, v49, -v28
	v_fma_f16 v2, v2, v32, -v25
	v_mul_f16_e32 v52, 0xba0c, v51
	v_add_f16_e32 v25, v7, v2
	s_mov_b32 s15, 0xb93d
	v_fma_f16 v28, v25, s15, v52
	v_add_f16_e32 v28, v28, v29
	v_mul_f16_sdwa v29, v3, v30 dst_sel:DWORD dst_unused:UNUSED_PAD src0_sel:WORD_1 src1_sel:DWORD
	v_mul_f16_sdwa v32, v6, v48 dst_sel:DWORD dst_unused:UNUSED_PAD src0_sel:WORD_1 src1_sel:DWORD
	v_fma_f16 v29, v3, v19, v29
	v_fma_f16 v32, v6, v27, v32
	v_mul_f16_sdwa v27, v6, v27 dst_sel:DWORD dst_unused:UNUSED_PAD src0_sel:WORD_1 src1_sel:DWORD
	v_mul_f16_sdwa v19, v3, v19 dst_sel:DWORD dst_unused:UNUSED_PAD src0_sel:WORD_1 src1_sel:DWORD
	v_sub_f16_e32 v49, v29, v32
	v_fma_f16 v6, v6, v48, -v27
	v_fma_f16 v3, v3, v30, -v19
	v_mul_f16_e32 v53, 0x3b47, v49
	v_add_f16_e32 v19, v6, v3
	s_movk_i32 s18, 0x36a6
	v_fma_f16 v27, v19, s18, v53
	v_add_f16_e32 v27, v27, v28
	v_mul_f16_sdwa v28, v4, v44 dst_sel:DWORD dst_unused:UNUSED_PAD src0_sel:WORD_1 src1_sel:DWORD
	v_mul_f16_sdwa v30, v5, v47 dst_sel:DWORD dst_unused:UNUSED_PAD src0_sel:WORD_1 src1_sel:DWORD
	v_fma_f16 v28, v4, v20, v28
	v_fma_f16 v30, v5, v26, v30
	v_mul_f16_sdwa v26, v5, v26 dst_sel:DWORD dst_unused:UNUSED_PAD src0_sel:WORD_1 src1_sel:DWORD
	v_mul_f16_sdwa v20, v4, v20 dst_sel:DWORD dst_unused:UNUSED_PAD src0_sel:WORD_1 src1_sel:DWORD
	v_sub_f16_e32 v48, v28, v30
	v_fma_f16 v5, v5, v47, -v26
	v_fma_f16 v4, v4, v44, -v20
	v_mul_f16_e32 v54, 0xbbeb, v48
	v_add_f16_e32 v20, v5, v4
	s_mov_b32 s19, 0xb08e
	v_fma_f16 v26, v20, s19, v54
	v_sub_f16_e32 v44, v0, v18
	v_add_f16_e32 v26, v26, v27
	v_add_f16_e32 v27, v31, v23
	v_mul_f16_e32 v47, 0xb482, v44
	v_sub_f16_e32 v57, v1, v17
	v_fma_f16 v39, v22, s2, -v39
	v_fma_f16 v55, v27, s2, -v47
	v_add_f16_e32 v56, v43, v41
	v_mul_f16_e32 v58, 0x3853, v57
	v_add_f16_e32 v39, v42, v39
	v_fma_f16 v50, v24, s14, -v50
	v_add_f16_e32 v55, v21, v55
	v_fma_f16 v59, v56, s14, -v58
	v_sub_f16_e32 v60, v2, v7
	v_add_f16_e32 v39, v50, v39
	v_fma_f16 v50, v25, s15, -v52
	v_add_f16_e32 v55, v59, v55
	v_add_f16_e32 v59, v45, v40
	v_mul_f16_e32 v61, 0xba0c, v60
	v_add_f16_e32 v39, v50, v39
	v_fma_f16 v50, v19, s18, -v53
	v_fma_f16 v62, v59, s15, -v61
	v_sub_f16_e32 v63, v3, v6
	v_add_f16_e32 v39, v50, v39
	v_fma_f16 v50, v20, s19, -v54
	v_fma_f16 v47, v27, s2, v47
	v_add_f16_e32 v55, v62, v55
	v_add_f16_e32 v62, v32, v29
	v_mul_f16_e32 v64, 0x3b47, v63
	v_add_f16_e32 v39, v50, v39
	v_add_f16_e32 v47, v21, v47
	v_fma_f16 v50, v56, s14, v58
	v_fma_f16 v65, v62, s18, -v64
	v_sub_f16_e32 v66, v4, v5
	v_add_f16_e32 v47, v50, v47
	v_fma_f16 v50, v59, s15, v61
	v_add_f16_e32 v55, v65, v55
	v_add_f16_e32 v65, v30, v28
	v_mul_f16_e32 v67, 0xbbeb, v66
	v_add_f16_e32 v47, v50, v47
	v_fma_f16 v50, v62, s18, v64
	v_add_f16_e32 v47, v50, v47
	v_fma_f16 v50, v65, s19, v67
	v_add_f16_e32 v47, v50, v47
	v_mul_f16_e32 v50, 0xb93d, v22
	s_movk_i32 s22, 0x3a0c
	s_mov_b32 s20, 0xbbeb
	v_fma_f16 v52, v37, s22, v50
	v_mul_f16_e32 v53, 0xb08e, v24
	v_add_f16_e32 v52, v42, v52
	v_fma_f16 v54, v46, s20, v53
	s_movk_i32 s17, 0x3853
	v_add_f16_e32 v52, v54, v52
	v_mul_f16_e32 v54, 0x3abb, v25
	v_fma_f16 v58, v51, s17, v54
	v_add_f16_e32 v52, v58, v52
	v_mul_f16_e32 v58, 0xbbad, v19
	s_movk_i32 s23, 0x3482
	v_fma_f16 v61, v49, s23, v58
	v_add_f16_e32 v52, v61, v52
	v_mul_f16_e32 v61, 0x36a6, v20
	s_mov_b32 s24, 0xbb47
	v_fma_f16 v64, v48, s24, v61
	v_fma_f16 v68, v65, s19, -v67
	v_add_f16_e32 v52, v64, v52
	v_mul_f16_e32 v64, 0xba0c, v44
	v_add_f16_e32 v55, v68, v55
	v_fma_f16 v67, v27, s15, v64
	v_mul_f16_e32 v68, 0x3beb, v57
	v_add_f16_e32 v67, v21, v67
	v_fma_f16 v69, v56, s19, v68
	v_add_f16_e32 v67, v69, v67
	v_mul_f16_e32 v69, 0xb853, v60
	v_fma_f16 v70, v59, s14, v69
	v_add_f16_e32 v67, v70, v67
	v_mul_f16_e32 v70, 0xb482, v63
	;; [unrolled: 3-line block ×3, first 2 shown]
	v_fma_f16 v72, v65, s18, v71
	s_movk_i32 s25, 0x3beb
	v_add_f16_e32 v67, v72, v67
	v_mul_f16_e32 v72, 0xb08e, v22
	s_mov_b32 s3, 0xb482
	v_fma_f16 v73, v37, s25, v72
	v_mul_f16_e32 v74, 0xbbad, v24
	v_add_f16_e32 v73, v42, v73
	v_fma_f16 v75, v46, s3, v74
	v_add_f16_e32 v73, v75, v73
	v_mul_f16_e32 v75, 0x36a6, v25
	v_fma_f16 v76, v51, s24, v75
	s_mov_b32 s16, 0xba0c
	v_add_f16_e32 v73, v76, v73
	v_mul_f16_e32 v76, 0x3abb, v19
	v_add_f16_e32 v0, v0, v42
	v_fma_f16 v77, v49, s17, v76
	v_add_f16_e32 v0, v1, v0
	v_fma_f16 v1, v37, s16, v50
	s_mov_b32 s26, 0xb853
	v_add_f16_e32 v73, v77, v73
	v_mul_f16_e32 v77, 0xb93d, v20
	v_add_f16_e32 v0, v2, v0
	v_add_f16_e32 v1, v42, v1
	v_fma_f16 v2, v46, s25, v53
	v_fma_f16 v78, v48, s22, v77
	v_add_f16_e32 v1, v2, v1
	v_fma_f16 v2, v51, s26, v54
	s_movk_i32 s21, 0x3b47
	v_add_f16_e32 v73, v78, v73
	v_mul_f16_e32 v78, 0xbbeb, v44
	v_add_f16_e32 v1, v2, v1
	v_fma_f16 v2, v49, s3, v58
	v_fma_f16 v79, v27, s19, v78
	v_mul_f16_e32 v80, 0x3482, v57
	v_add_f16_e32 v1, v2, v1
	v_fma_f16 v2, v48, s21, v61
	v_add_f16_e32 v79, v21, v79
	v_fma_f16 v81, v56, s2, v80
	v_add_f16_e32 v1, v2, v1
	v_fma_f16 v2, v27, s15, -v64
	v_add_f16_e32 v79, v81, v79
	v_mul_f16_e32 v81, 0x3b47, v60
	v_add_f16_e32 v0, v3, v0
	v_add_f16_e32 v2, v21, v2
	v_fma_f16 v3, v56, s19, -v68
	v_fma_f16 v82, v59, s18, v81
	v_add_f16_e32 v2, v3, v2
	v_fma_f16 v3, v59, s14, -v69
	v_add_f16_e32 v79, v82, v79
	v_mul_f16_e32 v82, 0xb853, v63
	v_add_f16_e32 v2, v3, v2
	v_fma_f16 v3, v62, s2, -v70
	v_fma_f16 v83, v62, s14, v82
	v_add_f16_e32 v2, v3, v2
	v_fma_f16 v3, v65, s18, -v71
	v_add_f16_e32 v79, v83, v79
	v_mul_f16_e32 v83, 0xba0c, v66
	v_add_f16_e32 v2, v3, v2
	v_fma_f16 v3, v37, s20, v72
	v_fma_f16 v84, v65, s15, v83
	v_add_f16_e32 v0, v4, v0
	v_add_f16_e32 v3, v42, v3
	v_fma_f16 v4, v46, s23, v74
	v_add_f16_e32 v79, v84, v79
	v_mul_f16_e32 v84, 0x36a6, v22
	v_add_f16_e32 v3, v4, v3
	v_fma_f16 v4, v51, s21, v75
	v_fma_f16 v85, v37, s21, v84
	v_mul_f16_e32 v86, 0xb93d, v24
	v_add_f16_e32 v3, v4, v3
	v_fma_f16 v4, v49, s26, v76
	v_add_f16_e32 v85, v42, v85
	v_fma_f16 v87, v46, s22, v86
	;; [unrolled: 2-line block ×3, first 2 shown]
	v_add_f16_e32 v85, v87, v85
	v_mul_f16_e32 v87, 0xbbad, v25
	v_add_f16_e32 v3, v4, v3
	v_fma_f16 v4, v27, s19, -v78
	v_fma_f16 v88, v51, s3, v87
	v_add_f16_e32 v0, v5, v0
	v_add_f16_e32 v4, v21, v4
	v_fma_f16 v5, v56, s2, -v80
	v_add_f16_e32 v85, v88, v85
	v_mul_f16_e32 v88, 0xb08e, v19
	v_add_f16_e32 v4, v5, v4
	v_fma_f16 v5, v59, s18, -v81
	v_fma_f16 v89, v49, s20, v88
	v_add_f16_e32 v4, v5, v4
	v_fma_f16 v5, v62, s14, -v82
	v_add_f16_e32 v85, v89, v85
	v_mul_f16_e32 v89, 0x3abb, v20
	v_add_f16_e32 v4, v5, v4
	v_fma_f16 v5, v65, s15, -v83
	v_fma_f16 v90, v48, s26, v89
	v_add_f16_e32 v4, v5, v4
	v_fma_f16 v5, v37, s24, v84
	v_add_f16_e32 v85, v90, v85
	v_mul_f16_e32 v90, 0xbb47, v44
	v_add_f16_e32 v0, v6, v0
	v_add_f16_e32 v5, v42, v5
	v_fma_f16 v6, v46, s16, v86
	v_fma_f16 v91, v27, s18, v90
	v_mul_f16_e32 v92, 0xba0c, v57
	v_add_f16_e32 v5, v6, v5
	v_fma_f16 v6, v51, s23, v87
	v_add_f16_e32 v91, v21, v91
	v_fma_f16 v93, v56, s15, v92
	;; [unrolled: 2-line block ×3, first 2 shown]
	v_add_f16_e32 v91, v93, v91
	v_mul_f16_e32 v93, 0x3482, v60
	v_add_f16_e32 v5, v6, v5
	v_fma_f16 v6, v48, s17, v89
	v_fma_f16 v94, v59, s2, v93
	v_add_f16_e32 v5, v6, v5
	v_fma_f16 v6, v27, s18, -v90
	v_add_f16_e32 v91, v94, v91
	v_mul_f16_e32 v94, 0x3beb, v63
	v_add_f16_e32 v0, v7, v0
	v_add_f16_e32 v6, v21, v6
	v_fma_f16 v7, v56, s15, -v92
	v_fma_f16 v95, v62, s19, v94
	v_add_f16_e32 v6, v7, v6
	v_fma_f16 v7, v59, s2, -v93
	v_add_f16_e32 v91, v95, v91
	v_mul_f16_e32 v95, 0x3853, v66
	v_add_f16_e32 v6, v7, v6
	v_fma_f16 v7, v62, s19, -v94
	v_fma_f16 v96, v65, s14, v95
	v_mul_f16_e32 v22, 0x3abb, v22
	v_add_f16_e32 v6, v7, v6
	v_fma_f16 v7, v65, s14, -v95
	v_add_f16_e32 v91, v96, v91
	v_fma_f16 v96, v37, s17, v22
	v_mul_f16_e32 v24, 0x36a6, v24
	v_add_f16_e32 v6, v7, v6
	v_fma_f16 v7, v37, s26, v22
	v_add_f16_e32 v96, v42, v96
	v_fma_f16 v97, v46, s21, v24
	v_mul_f16_e32 v25, 0xb08e, v25
	v_add_f16_e32 v23, v21, v23
	v_add_f16_e32 v0, v17, v0
	v_add_f16_e32 v7, v42, v7
	v_fma_f16 v17, v46, s24, v24
	v_add_f16_e32 v96, v97, v96
	v_fma_f16 v97, v51, s25, v25
	v_mul_f16_e32 v19, 0xb93d, v19
	v_add_f16_e32 v23, v41, v23
	v_add_f16_e32 v7, v17, v7
	v_fma_f16 v17, v51, s20, v25
	v_add_f16_e32 v96, v97, v96
	v_fma_f16 v97, v49, s22, v19
	v_mul_f16_e32 v20, 0xbbad, v20
	v_add_f16_e32 v23, v40, v23
	v_add_f16_e32 v7, v17, v7
	v_fma_f16 v17, v49, s16, v19
	v_add_f16_e32 v96, v97, v96
	v_fma_f16 v97, v48, s23, v20
	v_mul_f16_e32 v44, 0xb853, v44
	v_add_f16_e32 v23, v29, v23
	v_add_f16_e32 v7, v17, v7
	v_fma_f16 v17, v48, s3, v20
	v_add_f16_e32 v96, v97, v96
	v_fma_f16 v97, v27, s14, v44
	v_mul_f16_e32 v57, 0xbb47, v57
	v_add_f16_e32 v23, v28, v23
	v_add_f16_e32 v7, v17, v7
	v_fma_f16 v17, v27, s14, -v44
	v_add_f16_e32 v97, v21, v97
	v_fma_f16 v98, v56, s18, v57
	v_mul_f16_e32 v60, 0xbbeb, v60
	v_add_f16_e32 v23, v30, v23
	v_add_f16_e32 v0, v18, v0
	;; [unrolled: 1-line block ×3, first 2 shown]
	v_fma_f16 v18, v56, s18, -v57
	v_add_f16_e32 v97, v98, v97
	v_fma_f16 v98, v59, s19, v60
	v_mul_f16_e32 v63, 0xba0c, v63
	v_add_f16_e32 v23, v32, v23
	v_add_f16_e32 v17, v18, v17
	v_fma_f16 v18, v59, s19, -v60
	v_add_f16_e32 v97, v98, v97
	v_fma_f16 v98, v62, s15, v63
	v_mul_f16_e32 v66, 0xb482, v66
	v_add_f16_e32 v23, v45, v23
	v_add_f16_e32 v17, v18, v17
	v_fma_f16 v18, v62, s15, -v63
	v_add_f16_e32 v97, v98, v97
	v_fma_f16 v98, v65, s2, v66
	v_add_f16_e32 v23, v43, v23
	v_add_f16_e32 v17, v18, v17
	v_fma_f16 v18, v65, s2, -v66
	v_add_f16_e32 v97, v98, v97
	v_add_f16_e32 v23, v31, v23
	;; [unrolled: 1-line block ×3, first 2 shown]
	v_mul_u32_u24_e32 v18, 0x8f, v35
	v_add_lshl_u32 v18, v18, v36, 2
	v_pack_b32_f16 v0, v23, v0
	v_pack_b32_f16 v19, v97, v96
	ds_write2_b32 v18, v0, v19 offset1:13
	v_pack_b32_f16 v0, v91, v85
	v_pack_b32_f16 v19, v79, v73
	ds_write2_b32 v18, v0, v19 offset0:26 offset1:39
	v_pack_b32_f16 v0, v67, v52
	v_pack_b32_f16 v19, v47, v39
	ds_write2_b32 v18, v0, v19 offset0:52 offset1:65
	;; [unrolled: 3-line block ×4, first 2 shown]
	v_pack_b32_f16 v0, v17, v7
	ds_write_b32 v18, v0 offset:520
.LBB0_21:
	s_or_b64 exec, exec, s[4:5]
	s_waitcnt lgkmcnt(0)
	s_barrier
	ds_read2_b32 v[0:1], v33 offset1:143
	v_add_u32_e32 v18, 0x400, v33
	ds_read2_b32 v[2:3], v18 offset0:30 offset1:173
	v_add_u32_e32 v17, 0x800, v33
	ds_read2_b32 v[4:5], v17 offset0:60 offset1:203
	s_waitcnt lgkmcnt(2)
	v_lshrrev_b32_e32 v23, 16, v1
	v_mul_f16_sdwa v35, v8, v23 dst_sel:DWORD dst_unused:UNUSED_PAD src0_sel:WORD_1 src1_sel:DWORD
	s_waitcnt lgkmcnt(1)
	v_lshrrev_b32_e32 v24, 16, v2
	v_fma_f16 v35, v8, v1, v35
	v_mul_f16_sdwa v1, v8, v1 dst_sel:DWORD dst_unused:UNUSED_PAD src0_sel:WORD_1 src1_sel:DWORD
	v_fma_f16 v1, v8, v23, -v1
	v_mul_f16_sdwa v8, v9, v24 dst_sel:DWORD dst_unused:UNUSED_PAD src0_sel:WORD_1 src1_sel:DWORD
	v_lshrrev_b32_e32 v25, 16, v3
	v_add_u32_e32 v7, 0xc00, v33
	v_fma_f16 v8, v9, v2, v8
	v_mul_f16_sdwa v2, v9, v2 dst_sel:DWORD dst_unused:UNUSED_PAD src0_sel:WORD_1 src1_sel:DWORD
	ds_read2_b32 v[19:20], v7 offset0:90 offset1:233
	v_fma_f16 v2, v9, v24, -v2
	v_mul_f16_sdwa v9, v10, v25 dst_sel:DWORD dst_unused:UNUSED_PAD src0_sel:WORD_1 src1_sel:DWORD
	s_waitcnt lgkmcnt(1)
	v_lshrrev_b32_e32 v27, 16, v4
	v_fma_f16 v9, v10, v3, v9
	v_mul_f16_sdwa v3, v10, v3 dst_sel:DWORD dst_unused:UNUSED_PAD src0_sel:WORD_1 src1_sel:DWORD
	v_fma_f16 v3, v10, v25, -v3
	v_mul_f16_sdwa v10, v11, v27 dst_sel:DWORD dst_unused:UNUSED_PAD src0_sel:WORD_1 src1_sel:DWORD
	v_add_u32_e32 v26, 0x1100, v33
	v_lshrrev_b32_e32 v28, 16, v5
	v_fma_f16 v10, v11, v4, v10
	v_mul_f16_sdwa v4, v11, v4 dst_sel:DWORD dst_unused:UNUSED_PAD src0_sel:WORD_1 src1_sel:DWORD
	ds_read2_b32 v[21:22], v26 offset0:56 offset1:199
	v_fma_f16 v4, v11, v27, -v4
	v_mul_f16_sdwa v11, v12, v28 dst_sel:DWORD dst_unused:UNUSED_PAD src0_sel:WORD_1 src1_sel:DWORD
	s_waitcnt lgkmcnt(1)
	v_lshrrev_b32_e32 v29, 16, v19
	v_fma_f16 v11, v12, v5, v11
	v_mul_f16_sdwa v5, v12, v5 dst_sel:DWORD dst_unused:UNUSED_PAD src0_sel:WORD_1 src1_sel:DWORD
	v_fma_f16 v5, v12, v28, -v5
	v_mul_f16_sdwa v12, v13, v29 dst_sel:DWORD dst_unused:UNUSED_PAD src0_sel:WORD_1 src1_sel:DWORD
	v_lshrrev_b32_e32 v30, 16, v20
	v_fma_f16 v12, v13, v19, v12
	v_mul_f16_sdwa v19, v13, v19 dst_sel:DWORD dst_unused:UNUSED_PAD src0_sel:WORD_1 src1_sel:DWORD
	v_fma_f16 v13, v13, v29, -v19
	v_mul_f16_sdwa v19, v14, v30 dst_sel:DWORD dst_unused:UNUSED_PAD src0_sel:WORD_1 src1_sel:DWORD
	s_waitcnt lgkmcnt(0)
	v_lshrrev_b32_e32 v31, 16, v21
	v_fma_f16 v19, v14, v20, v19
	v_mul_f16_sdwa v20, v14, v20 dst_sel:DWORD dst_unused:UNUSED_PAD src0_sel:WORD_1 src1_sel:DWORD
	v_fma_f16 v14, v14, v30, -v20
	v_mul_f16_sdwa v20, v15, v31 dst_sel:DWORD dst_unused:UNUSED_PAD src0_sel:WORD_1 src1_sel:DWORD
	v_fma_f16 v20, v15, v21, v20
	v_mul_f16_sdwa v21, v15, v21 dst_sel:DWORD dst_unused:UNUSED_PAD src0_sel:WORD_1 src1_sel:DWORD
	v_fma_f16 v15, v15, v31, -v21
	v_add_f16_e32 v24, v10, v12
	v_fma_f16 v24, v24, -0.5, v0
	v_sub_f16_e32 v25, v2, v15
	s_mov_b32 s2, 0xbb9c
	s_movk_i32 s5, 0x3b9c
	v_fma_f16 v27, v25, s2, v24
	v_sub_f16_e32 v28, v4, v13
	s_mov_b32 s3, 0xb8b4
	v_sub_f16_e32 v29, v8, v10
	v_sub_f16_e32 v30, v20, v12
	v_fma_f16 v24, v25, s5, v24
	s_movk_i32 s14, 0x38b4
	v_fma_f16 v27, v28, s3, v27
	v_add_f16_e32 v29, v29, v30
	s_movk_i32 s4, 0x34f2
	v_fma_f16 v24, v28, s14, v24
	v_fma_f16 v27, v29, s4, v27
	;; [unrolled: 1-line block ×3, first 2 shown]
	v_add_f16_e32 v29, v8, v20
	v_lshrrev_b32_e32 v6, 16, v0
	v_add_f16_e32 v23, v0, v8
	v_fma_f16 v0, v29, -0.5, v0
	v_add_f16_e32 v23, v23, v10
	v_fma_f16 v29, v28, s5, v0
	v_fma_f16 v0, v28, s2, v0
	v_add_f16_e32 v28, v4, v13
	v_add_f16_e32 v23, v23, v12
	v_sub_f16_e32 v30, v10, v8
	v_sub_f16_e32 v31, v12, v20
	v_fma_f16 v28, v28, -0.5, v6
	v_sub_f16_e32 v8, v8, v20
	v_add_f16_e32 v23, v23, v20
	v_fma_f16 v29, v25, s3, v29
	v_add_f16_e32 v30, v30, v31
	v_fma_f16 v0, v25, s14, v0
	v_fma_f16 v20, v8, s5, v28
	v_sub_f16_e32 v10, v10, v12
	v_fma_f16 v29, v30, s4, v29
	v_fma_f16 v0, v30, s4, v0
	;; [unrolled: 1-line block ×3, first 2 shown]
	v_sub_f16_e32 v20, v2, v4
	v_sub_f16_e32 v30, v15, v13
	v_fma_f16 v28, v8, s2, v28
	v_add_f16_e32 v20, v20, v30
	v_fma_f16 v28, v10, s3, v28
	v_lshrrev_b32_e32 v32, 16, v22
	v_fma_f16 v12, v20, s4, v12
	v_fma_f16 v20, v20, s4, v28
	v_add_f16_e32 v28, v2, v15
	v_mul_f16_sdwa v21, v38, v32 dst_sel:DWORD dst_unused:UNUSED_PAD src0_sel:WORD_1 src1_sel:DWORD
	v_add_f16_e32 v25, v6, v2
	v_fma_f16 v6, v28, -0.5, v6
	v_fma_f16 v21, v38, v22, v21
	v_mul_f16_sdwa v22, v38, v22 dst_sel:DWORD dst_unused:UNUSED_PAD src0_sel:WORD_1 src1_sel:DWORD
	v_fma_f16 v28, v10, s2, v6
	v_fma_f16 v6, v10, s5, v6
	v_fma_f16 v22, v38, v32, -v22
	v_add_f16_e32 v25, v25, v4
	v_fma_f16 v28, v8, s14, v28
	v_sub_f16_e32 v2, v4, v2
	v_sub_f16_e32 v4, v13, v15
	v_fma_f16 v6, v8, s3, v6
	v_add_f16_e32 v8, v11, v19
	v_add_f16_e32 v25, v25, v13
	v_add_f16_e32 v2, v2, v4
	v_fma_f16 v8, v8, -0.5, v35
	v_sub_f16_e32 v10, v3, v22
	v_add_f16_e32 v25, v25, v15
	v_fma_f16 v4, v2, s4, v28
	v_fma_f16 v13, v10, s2, v8
	v_sub_f16_e32 v15, v5, v14
	v_sub_f16_e32 v28, v9, v11
	;; [unrolled: 1-line block ×3, first 2 shown]
	v_fma_f16 v8, v10, s5, v8
	v_fma_f16 v13, v15, s3, v13
	v_add_f16_e32 v28, v28, v30
	v_fma_f16 v8, v15, s14, v8
	v_fma_f16 v13, v28, s4, v13
	;; [unrolled: 1-line block ×3, first 2 shown]
	v_add_f16_e32 v28, v9, v21
	v_fma_f16 v2, v2, s4, v6
	v_add_f16_e32 v6, v35, v9
	v_fma_f16 v28, v28, -0.5, v35
	v_add_f16_e32 v6, v6, v11
	v_fma_f16 v30, v15, s5, v28
	v_fma_f16 v15, v15, s2, v28
	v_add_f16_e32 v28, v5, v14
	v_add_f16_e32 v6, v6, v19
	v_sub_f16_e32 v31, v11, v9
	v_sub_f16_e32 v32, v19, v21
	v_fma_f16 v28, v28, -0.5, v1
	v_sub_f16_e32 v9, v9, v21
	v_add_f16_e32 v6, v6, v21
	v_fma_f16 v30, v10, s3, v30
	v_add_f16_e32 v31, v31, v32
	v_fma_f16 v10, v10, s14, v15
	v_fma_f16 v21, v9, s5, v28
	v_sub_f16_e32 v11, v11, v19
	v_fma_f16 v30, v31, s4, v30
	v_fma_f16 v10, v31, s4, v10
	;; [unrolled: 1-line block ×3, first 2 shown]
	v_sub_f16_e32 v21, v3, v5
	v_sub_f16_e32 v31, v22, v14
	v_fma_f16 v28, v9, s2, v28
	v_add_f16_e32 v21, v21, v31
	v_fma_f16 v28, v11, s3, v28
	v_fma_f16 v19, v21, s4, v19
	;; [unrolled: 1-line block ×3, first 2 shown]
	v_add_f16_e32 v28, v3, v22
	v_add_f16_e32 v15, v1, v3
	v_fma_f16 v1, v28, -0.5, v1
	v_add_f16_e32 v15, v15, v5
	v_fma_f16 v28, v11, s2, v1
	v_sub_f16_e32 v3, v5, v3
	v_sub_f16_e32 v5, v14, v22
	v_fma_f16 v1, v11, s5, v1
	v_fma_f16 v28, v9, s14, v28
	v_add_f16_e32 v3, v3, v5
	v_fma_f16 v1, v9, s3, v1
	v_add_f16_e32 v15, v15, v14
	v_fma_f16 v5, v3, s4, v28
	v_fma_f16 v1, v3, s4, v1
	v_mul_f16_e32 v9, 0xb8b4, v19
	s_movk_i32 s2, 0x3a79
	v_mul_f16_e32 v19, 0x3a79, v19
	v_add_f16_e32 v15, v15, v22
	v_fma_f16 v9, v13, s2, v9
	v_mul_f16_e32 v14, 0xbb9c, v5
	v_mul_f16_e32 v28, 0xbb9c, v1
	s_mov_b32 s2, 0xb4f2
	v_fma_f16 v13, v13, s14, v19
	v_mul_f16_e32 v5, 0x34f2, v5
	v_mul_f16_e32 v1, 0xb4f2, v1
	v_add_f16_e32 v3, v23, v6
	v_add_f16_e32 v11, v27, v9
	v_fma_f16 v14, v30, s4, v14
	v_fma_f16 v28, v10, s2, v28
	v_mul_f16_e32 v32, 0xb8b4, v21
	s_mov_b32 s2, 0xba79
	v_add_f16_e32 v36, v25, v15
	v_add_f16_e32 v19, v12, v13
	v_fma_f16 v5, v30, s5, v5
	v_fma_f16 v1, v10, s5, v1
	v_mul_f16_e32 v21, 0xba79, v21
	v_add_f16_e32 v22, v29, v14
	v_add_f16_e32 v31, v0, v28
	v_fma_f16 v32, v8, s2, v32
	v_add_f16_e32 v30, v4, v5
	v_add_f16_e32 v10, v2, v1
	v_fma_f16 v8, v8, s14, v21
	v_sub_f16_e32 v4, v4, v5
	v_pack_b32_f16 v3, v3, v36
	v_pack_b32_f16 v5, v11, v19
	v_add_f16_e32 v35, v24, v32
	v_add_f16_e32 v21, v20, v8
	v_sub_f16_e32 v6, v23, v6
	v_sub_f16_e32 v15, v25, v15
	ds_write2_b32 v33, v3, v5 offset1:143
	v_pack_b32_f16 v3, v22, v30
	v_pack_b32_f16 v5, v31, v10
	v_sub_f16_e32 v9, v27, v9
	v_sub_f16_e32 v14, v29, v14
	v_sub_f16_e32 v0, v0, v28
	v_sub_f16_e32 v23, v24, v32
	v_sub_f16_e32 v12, v12, v13
	v_sub_f16_e32 v1, v2, v1
	v_sub_f16_e32 v2, v20, v8
	ds_write2_b32 v18, v3, v5 offset0:30 offset1:173
	v_pack_b32_f16 v3, v35, v21
	v_pack_b32_f16 v5, v6, v15
	ds_write2_b32 v17, v3, v5 offset0:60 offset1:203
	v_pack_b32_f16 v3, v9, v12
	v_pack_b32_f16 v4, v14, v4
	;; [unrolled: 1-line block ×4, first 2 shown]
	ds_write2_b32 v7, v3, v4 offset0:90 offset1:233
	ds_write2_b32 v26, v0, v1 offset0:56 offset1:199
	s_waitcnt lgkmcnt(0)
	s_barrier
	s_and_b64 exec, exec, s[0:1]
	s_cbranch_execz .LBB0_23
; %bb.22:
	global_load_dword v12, v33, s[6:7]
	global_load_dword v11, v33, s[6:7] offset:440
	ds_read_b32 v20, v33
	s_mov_b32 s14, 0xd118b474
	s_mov_b32 s15, 0x3f46ea28
	v_mad_u64_u32 v[2:3], s[0:1], s10, v16, 0
	s_waitcnt lgkmcnt(0)
	v_lshrrev_b32_e32 v21, 16, v20
	v_mad_u64_u32 v[4:5], s[0:1], s8, v34, 0
	v_mov_b32_e32 v9, s7
	s_movk_i32 s18, 0x1ff
	v_mad_u64_u32 v[24:25], s[0:1], s11, v16, v[3:4]
	v_add_co_u32_e32 v8, vcc, s6, v33
	v_addc_co_u32_e32 v9, vcc, 0, v9, vcc
	v_mov_b32_e32 v6, 0x7c00
	s_movk_i32 s17, 0xffe
	v_mad_u64_u32 v[25:26], s[0:1], s9, v34, v[5:6]
	v_mov_b32_e32 v3, v24
	ds_read2_b32 v[0:1], v33 offset0:110 offset1:220
	global_load_dword v13, v33, s[6:7] offset:880
	global_load_dword v14, v33, s[6:7] offset:1320
	;; [unrolled: 1-line block ×5, first 2 shown]
	s_movk_i32 s16, 0x40f
	s_mov_b32 s10, 0x8000
	v_lshlrev_b64 v[2:3], 2, v[2:3]
	s_movk_i32 s19, 0x1000
	s_waitcnt vmcnt(6)
	v_mul_f16_sdwa v22, v21, v12 dst_sel:DWORD dst_unused:UNUSED_PAD src0_sel:DWORD src1_sel:WORD_1
	v_fma_f16 v22, v20, v12, v22
	v_mul_f16_sdwa v20, v20, v12 dst_sel:DWORD dst_unused:UNUSED_PAD src0_sel:DWORD src1_sel:WORD_1
	v_cvt_f32_f16_e32 v22, v22
	v_fma_f16 v12, v12, v21, -v20
	v_cvt_f32_f16_e32 v12, v12
	v_cvt_f64_f32_e32 v[20:21], v22
	v_cvt_f64_f32_e32 v[22:23], v12
	s_waitcnt lgkmcnt(0)
	v_lshrrev_b32_e32 v12, 16, v0
	v_mul_f64 v[20:21], v[20:21], s[14:15]
	s_waitcnt vmcnt(5)
	v_mul_f16_sdwa v5, v12, v11 dst_sel:DWORD dst_unused:UNUSED_PAD src0_sel:DWORD src1_sel:WORD_1
	v_mul_f64 v[22:23], v[22:23], s[14:15]
	v_fma_f16 v5, v0, v11, v5
	v_mul_f16_sdwa v0, v0, v11 dst_sel:DWORD dst_unused:UNUSED_PAD src0_sel:DWORD src1_sel:WORD_1
	v_fma_f16 v0, v11, v12, -v0
	v_cvt_f32_f16_e32 v0, v0
	v_and_or_b32 v16, v21, s18, v20
	v_cmp_ne_u32_e32 vcc, 0, v16
	v_and_or_b32 v22, v23, s18, v22
	v_lshrrev_b32_e32 v20, 8, v21
	v_bfe_u32 v24, v21, 20, 11
	v_cndmask_b32_e64 v16, 0, 1, vcc
	v_cmp_ne_u32_e32 vcc, 0, v22
	v_lshrrev_b32_e32 v26, 8, v23
	v_bfe_u32 v27, v23, 20, 11
	v_sub_u32_e32 v28, 0x3f1, v24
	v_cndmask_b32_e64 v22, 0, 1, vcc
	v_and_or_b32 v16, v20, s17, v16
	v_sub_u32_e32 v29, 0x3f1, v27
	v_med3_i32 v20, v28, 0, 13
	v_and_or_b32 v22, v26, s17, v22
	v_or_b32_e32 v28, 0x1000, v16
	v_add_u32_e32 v24, 0xfffffc10, v24
	v_med3_i32 v26, v29, 0, 13
	v_cmp_ne_u32_e32 vcc, 0, v16
	v_or_b32_e32 v30, 0x1000, v22
	v_lshrrev_b32_e32 v32, v20, v28
	v_add_u32_e32 v27, 0xfffffc10, v27
	v_lshl_or_b32 v29, v24, 12, v16
	v_cndmask_b32_e64 v16, 0, 1, vcc
	v_cmp_ne_u32_e32 vcc, 0, v22
	v_lshrrev_b32_e32 v34, v26, v30
	v_lshlrev_b32_e32 v20, v20, v32
	v_lshl_or_b32 v31, v27, 12, v22
	v_cndmask_b32_e64 v22, 0, 1, vcc
	v_lshlrev_b32_e32 v26, v26, v34
	v_cmp_ne_u32_e32 vcc, v20, v28
	v_cndmask_b32_e64 v20, 0, 1, vcc
	v_cmp_ne_u32_e32 vcc, v26, v30
	v_cndmask_b32_e64 v26, 0, 1, vcc
	v_or_b32_e32 v20, v32, v20
	v_cmp_gt_i32_e32 vcc, 1, v24
	v_cndmask_b32_e32 v20, v29, v20, vcc
	v_or_b32_e32 v26, v34, v26
	v_cmp_gt_i32_e32 vcc, 1, v27
	v_and_b32_e32 v28, 7, v20
	v_cndmask_b32_e32 v26, v31, v26, vcc
	v_cmp_lt_i32_e32 vcc, 5, v28
	v_cmp_eq_u32_e64 s[0:1], 3, v28
	v_lshrrev_b32_e32 v20, 2, v20
	v_and_b32_e32 v29, 7, v26
	s_or_b64 vcc, s[0:1], vcc
	v_cmp_lt_i32_e64 s[2:3], 5, v29
	v_cmp_eq_u32_e64 s[4:5], 3, v29
	v_addc_co_u32_e32 v20, vcc, 0, v20, vcc
	v_lshrrev_b32_e32 v26, 2, v26
	s_or_b64 vcc, s[4:5], s[2:3]
	v_addc_co_u32_e32 v26, vcc, 0, v26, vcc
	v_cmp_gt_i32_e32 vcc, 31, v24
	v_cndmask_b32_e32 v20, v6, v20, vcc
	v_cmp_gt_i32_e32 vcc, 31, v27
	v_lshl_or_b32 v16, v16, 9, v6
	v_cndmask_b32_e32 v26, v6, v26, vcc
	v_cmp_eq_u32_e32 vcc, s16, v24
	v_lshrrev_b32_e32 v21, 16, v21
	v_cndmask_b32_e32 v16, v20, v16, vcc
	v_and_or_b32 v16, v21, s10, v16
	v_cvt_f32_f16_e32 v21, v5
	v_lshl_or_b32 v22, v22, 9, v6
	v_cmp_eq_u32_e32 vcc, s16, v27
	v_lshrrev_b32_e32 v23, 16, v23
	v_cndmask_b32_e32 v20, v26, v22, vcc
	v_and_or_b32 v22, v23, s10, v20
	v_cvt_f64_f32_e32 v[20:21], v21
	v_and_b32_e32 v16, 0xffff, v16
	v_mov_b32_e32 v5, v25
	v_lshl_or_b32 v16, v22, 16, v16
	v_mul_f64 v[20:21], v[20:21], s[14:15]
	v_mov_b32_e32 v22, s13
	v_add_co_u32_e32 v23, vcc, s12, v2
	v_addc_co_u32_e32 v22, vcc, v22, v3, vcc
	v_lshlrev_b64 v[2:3], 2, v[4:5]
	s_mul_hi_u32 s2, s8, 0x1b8
	v_add_co_u32_e32 v2, vcc, v23, v2
	v_addc_co_u32_e32 v3, vcc, v22, v3, vcc
	v_and_or_b32 v4, v21, s18, v20
	v_cmp_ne_u32_e32 vcc, 0, v4
	v_cndmask_b32_e64 v4, 0, 1, vcc
	v_lshrrev_b32_e32 v5, 8, v21
	global_store_dword v[2:3], v16, off
	v_and_or_b32 v16, v5, s17, v4
	v_bfe_u32 v5, v21, 20, 11
	v_sub_u32_e32 v20, 0x3f1, v5
	v_or_b32_e32 v4, 0x1000, v16
	v_med3_i32 v20, v20, 0, 13
	v_lshrrev_b32_e32 v22, v20, v4
	v_lshlrev_b32_e32 v20, v20, v22
	v_cmp_ne_u32_e32 vcc, v20, v4
	v_cndmask_b32_e64 v4, 0, 1, vcc
	v_add_u32_e32 v20, 0xfffffc10, v5
	v_or_b32_e32 v4, v22, v4
	v_lshl_or_b32 v5, v20, 12, v16
	v_cmp_gt_i32_e32 vcc, 1, v20
	v_cndmask_b32_e32 v4, v5, v4, vcc
	v_and_b32_e32 v5, 7, v4
	v_cmp_lt_i32_e32 vcc, 5, v5
	v_cmp_eq_u32_e64 s[0:1], 3, v5
	v_lshrrev_b32_e32 v11, 2, v4
	v_cvt_f64_f32_e32 v[4:5], v0
	s_or_b64 vcc, s[0:1], vcc
	v_addc_co_u32_e32 v0, vcc, 0, v11, vcc
	v_mul_f64 v[4:5], v[4:5], s[14:15]
	v_cmp_gt_i32_e32 vcc, 31, v20
	v_cndmask_b32_e32 v0, v6, v0, vcc
	v_cmp_ne_u32_e32 vcc, 0, v16
	v_cndmask_b32_e64 v11, 0, 1, vcc
	v_lshl_or_b32 v11, v11, 9, v6
	v_cmp_eq_u32_e32 vcc, s16, v20
	v_cndmask_b32_e32 v0, v0, v11, vcc
	v_and_or_b32 v4, v5, s18, v4
	v_lshrrev_b32_e32 v11, 16, v21
	v_cmp_ne_u32_e32 vcc, 0, v4
	v_and_or_b32 v0, v11, s10, v0
	v_cndmask_b32_e64 v4, 0, 1, vcc
	v_lshrrev_b32_e32 v11, 8, v5
	v_bfe_u32 v12, v5, 20, 11
	v_and_or_b32 v4, v11, s17, v4
	v_sub_u32_e32 v16, 0x3f1, v12
	v_or_b32_e32 v11, 0x1000, v4
	v_med3_i32 v16, v16, 0, 13
	v_lshrrev_b32_e32 v20, v16, v11
	v_lshlrev_b32_e32 v16, v16, v20
	v_cmp_ne_u32_e32 vcc, v16, v11
	v_cndmask_b32_e64 v11, 0, 1, vcc
	v_add_u32_e32 v12, 0xfffffc10, v12
	v_or_b32_e32 v11, v20, v11
	v_lshl_or_b32 v16, v12, 12, v4
	v_cmp_gt_i32_e32 vcc, 1, v12
	v_cndmask_b32_e32 v11, v16, v11, vcc
	v_and_b32_e32 v16, 7, v11
	v_cmp_lt_i32_e32 vcc, 5, v16
	v_cmp_eq_u32_e64 s[0:1], 3, v16
	v_lshrrev_b32_e32 v11, 2, v11
	s_or_b64 vcc, s[0:1], vcc
	v_addc_co_u32_e32 v11, vcc, 0, v11, vcc
	v_cmp_gt_i32_e32 vcc, 31, v12
	v_cndmask_b32_e32 v11, v6, v11, vcc
	v_cmp_ne_u32_e32 vcc, 0, v4
	v_cndmask_b32_e64 v4, 0, 1, vcc
	v_lshl_or_b32 v4, v4, 9, v6
	v_cmp_eq_u32_e32 vcc, s16, v12
	v_cndmask_b32_e32 v4, v11, v4, vcc
	v_lshrrev_b32_e32 v11, 16, v1
	s_waitcnt vmcnt(5)
	v_mul_f16_sdwa v12, v11, v13 dst_sel:DWORD dst_unused:UNUSED_PAD src0_sel:DWORD src1_sel:WORD_1
	v_fma_f16 v12, v1, v13, v12
	v_cvt_f32_f16_e32 v12, v12
	v_lshrrev_b32_e32 v5, 16, v5
	v_and_or_b32 v4, v5, s10, v4
	v_and_b32_e32 v0, 0xffff, v0
	v_lshl_or_b32 v0, v4, 16, v0
	v_cvt_f64_f32_e32 v[4:5], v12
	s_mul_i32 s0, s9, 0x1b8
	s_add_i32 s2, s2, s0
	s_mul_i32 s3, s8, 0x1b8
	v_mul_f64 v[4:5], v[4:5], s[14:15]
	v_mov_b32_e32 v12, s2
	v_add_co_u32_e32 v2, vcc, s3, v2
	v_addc_co_u32_e32 v3, vcc, v3, v12, vcc
	global_store_dword v[2:3], v0, off
	v_mul_f16_sdwa v1, v1, v13 dst_sel:DWORD dst_unused:UNUSED_PAD src0_sel:DWORD src1_sel:WORD_1
	v_and_or_b32 v0, v5, s18, v4
	v_cmp_ne_u32_e32 vcc, 0, v0
	v_cndmask_b32_e64 v0, 0, 1, vcc
	v_lshrrev_b32_e32 v4, 8, v5
	v_bfe_u32 v12, v5, 20, 11
	v_and_or_b32 v4, v4, s17, v0
	v_sub_u32_e32 v16, 0x3f1, v12
	v_or_b32_e32 v0, 0x1000, v4
	v_med3_i32 v16, v16, 0, 13
	v_lshrrev_b32_e32 v20, v16, v0
	v_lshlrev_b32_e32 v16, v16, v20
	v_fma_f16 v1, v13, v11, -v1
	v_cmp_ne_u32_e32 vcc, v16, v0
	v_cvt_f32_f16_e32 v1, v1
	v_cndmask_b32_e64 v0, 0, 1, vcc
	v_add_u32_e32 v12, 0xfffffc10, v12
	v_or_b32_e32 v0, v20, v0
	v_lshl_or_b32 v16, v12, 12, v4
	v_cmp_gt_i32_e32 vcc, 1, v12
	v_cndmask_b32_e32 v0, v16, v0, vcc
	v_and_b32_e32 v16, 7, v0
	v_lshrrev_b32_e32 v11, 2, v0
	v_cvt_f64_f32_e32 v[0:1], v1
	v_cmp_lt_i32_e32 vcc, 5, v16
	v_cmp_eq_u32_e64 s[0:1], 3, v16
	s_or_b64 vcc, s[0:1], vcc
	v_mul_f64 v[0:1], v[0:1], s[14:15]
	v_addc_co_u32_e32 v11, vcc, 0, v11, vcc
	v_cmp_gt_i32_e32 vcc, 31, v12
	v_cndmask_b32_e32 v11, v6, v11, vcc
	v_cmp_ne_u32_e32 vcc, 0, v4
	v_cndmask_b32_e64 v4, 0, 1, vcc
	v_lshl_or_b32 v4, v4, 9, v6
	v_cmp_eq_u32_e32 vcc, s16, v12
	v_and_or_b32 v0, v1, s18, v0
	v_cndmask_b32_e32 v4, v11, v4, vcc
	v_lshrrev_b32_e32 v5, 16, v5
	v_cmp_ne_u32_e32 vcc, 0, v0
	v_and_or_b32 v13, v5, s10, v4
	v_cndmask_b32_e64 v0, 0, 1, vcc
	v_lshrrev_b32_e32 v4, 8, v1
	v_bfe_u32 v5, v1, 20, 11
	v_and_or_b32 v0, v4, s17, v0
	v_sub_u32_e32 v11, 0x3f1, v5
	v_or_b32_e32 v4, 0x1000, v0
	v_med3_i32 v11, v11, 0, 13
	v_lshrrev_b32_e32 v12, v11, v4
	v_lshlrev_b32_e32 v11, v11, v12
	v_cmp_ne_u32_e32 vcc, v11, v4
	v_cndmask_b32_e64 v4, 0, 1, vcc
	v_add_u32_e32 v11, 0xfffffc10, v5
	v_or_b32_e32 v4, v12, v4
	v_lshl_or_b32 v5, v11, 12, v0
	v_cmp_gt_i32_e32 vcc, 1, v11
	v_cndmask_b32_e32 v4, v5, v4, vcc
	v_and_b32_e32 v5, 7, v4
	v_cmp_lt_i32_e32 vcc, 5, v5
	v_cmp_eq_u32_e64 s[0:1], 3, v5
	v_lshrrev_b32_e32 v4, 2, v4
	s_or_b64 vcc, s[0:1], vcc
	v_addc_co_u32_e32 v12, vcc, 0, v4, vcc
	ds_read2_b32 v[4:5], v18 offset0:74 offset1:184
	v_cmp_gt_i32_e32 vcc, 31, v11
	v_cndmask_b32_e32 v12, v6, v12, vcc
	v_cmp_ne_u32_e32 vcc, 0, v0
	v_cndmask_b32_e64 v0, 0, 1, vcc
	s_waitcnt lgkmcnt(0)
	v_lshrrev_b32_e32 v16, 16, v4
	s_waitcnt vmcnt(5)
	v_mul_f16_sdwa v18, v16, v14 dst_sel:DWORD dst_unused:UNUSED_PAD src0_sel:DWORD src1_sel:WORD_1
	v_fma_f16 v18, v4, v14, v18
	v_cvt_f32_f16_e32 v18, v18
	v_lshl_or_b32 v0, v0, 9, v6
	v_cmp_eq_u32_e32 vcc, s16, v11
	v_cndmask_b32_e32 v0, v12, v0, vcc
	v_cvt_f64_f32_e32 v[11:12], v18
	v_lshrrev_b32_e32 v1, 16, v1
	v_and_or_b32 v18, v1, s10, v0
	v_add_co_u32_e32 v2, vcc, s3, v2
	v_mul_f64 v[0:1], v[11:12], s[14:15]
	v_mov_b32_e32 v12, s2
	v_and_b32_e32 v13, 0xffff, v13
	v_addc_co_u32_e32 v3, vcc, v3, v12, vcc
	v_lshl_or_b32 v11, v18, 16, v13
	global_store_dword v[2:3], v11, off
	v_mul_f16_sdwa v4, v4, v14 dst_sel:DWORD dst_unused:UNUSED_PAD src0_sel:DWORD src1_sel:WORD_1
	v_and_or_b32 v0, v1, s18, v0
	v_cmp_ne_u32_e32 vcc, 0, v0
	v_cndmask_b32_e64 v0, 0, 1, vcc
	v_lshrrev_b32_e32 v11, 8, v1
	v_bfe_u32 v12, v1, 20, 11
	v_and_or_b32 v0, v11, s17, v0
	v_sub_u32_e32 v13, 0x3f1, v12
	v_or_b32_e32 v11, 0x1000, v0
	v_med3_i32 v13, v13, 0, 13
	v_lshrrev_b32_e32 v18, v13, v11
	v_lshlrev_b32_e32 v13, v13, v18
	v_cmp_ne_u32_e32 vcc, v13, v11
	v_fma_f16 v4, v14, v16, -v4
	v_cndmask_b32_e64 v11, 0, 1, vcc
	v_add_u32_e32 v13, 0xfffffc10, v12
	v_cvt_f32_f16_e32 v4, v4
	v_or_b32_e32 v11, v18, v11
	v_lshl_or_b32 v12, v13, 12, v0
	v_cmp_gt_i32_e32 vcc, 1, v13
	v_cndmask_b32_e32 v11, v12, v11, vcc
	v_and_b32_e32 v12, 7, v11
	v_cmp_lt_i32_e32 vcc, 5, v12
	v_cmp_eq_u32_e64 s[0:1], 3, v12
	v_lshrrev_b32_e32 v14, 2, v11
	v_cvt_f64_f32_e32 v[11:12], v4
	s_or_b64 vcc, s[0:1], vcc
	v_addc_co_u32_e32 v4, vcc, 0, v14, vcc
	v_mul_f64 v[11:12], v[11:12], s[14:15]
	v_cmp_gt_i32_e32 vcc, 31, v13
	v_cndmask_b32_e32 v4, v6, v4, vcc
	v_cmp_ne_u32_e32 vcc, 0, v0
	v_cndmask_b32_e64 v0, 0, 1, vcc
	v_lshl_or_b32 v0, v0, 9, v6
	v_cmp_eq_u32_e32 vcc, s16, v13
	v_cndmask_b32_e32 v0, v4, v0, vcc
	v_lshrrev_b32_e32 v1, 16, v1
	v_and_or_b32 v4, v1, s10, v0
	v_and_or_b32 v0, v12, s18, v11
	v_cmp_ne_u32_e32 vcc, 0, v0
	v_cndmask_b32_e64 v0, 0, 1, vcc
	v_lshrrev_b32_e32 v1, 8, v12
	v_bfe_u32 v11, v12, 20, 11
	v_and_or_b32 v0, v1, s17, v0
	v_sub_u32_e32 v13, 0x3f1, v11
	v_or_b32_e32 v1, 0x1000, v0
	v_med3_i32 v13, v13, 0, 13
	v_lshrrev_b32_e32 v14, v13, v1
	v_lshlrev_b32_e32 v13, v13, v14
	v_cmp_ne_u32_e32 vcc, v13, v1
	v_cndmask_b32_e64 v1, 0, 1, vcc
	v_add_u32_e32 v11, 0xfffffc10, v11
	v_or_b32_e32 v1, v14, v1
	v_lshl_or_b32 v13, v11, 12, v0
	v_cmp_gt_i32_e32 vcc, 1, v11
	v_cndmask_b32_e32 v1, v13, v1, vcc
	v_and_b32_e32 v13, 7, v1
	v_cmp_lt_i32_e32 vcc, 5, v13
	v_cmp_eq_u32_e64 s[0:1], 3, v13
	v_lshrrev_b32_e32 v13, 16, v5
	v_lshrrev_b32_e32 v1, 2, v1
	s_or_b64 vcc, s[0:1], vcc
	s_waitcnt vmcnt(5)
	v_mul_f16_sdwa v14, v13, v15 dst_sel:DWORD dst_unused:UNUSED_PAD src0_sel:DWORD src1_sel:WORD_1
	v_addc_co_u32_e32 v1, vcc, 0, v1, vcc
	v_fma_f16 v14, v5, v15, v14
	v_cmp_gt_i32_e32 vcc, 31, v11
	v_cvt_f32_f16_e32 v14, v14
	v_cndmask_b32_e32 v1, v6, v1, vcc
	v_cmp_ne_u32_e32 vcc, 0, v0
	v_cndmask_b32_e64 v0, 0, 1, vcc
	v_lshl_or_b32 v0, v0, 9, v6
	v_cmp_eq_u32_e32 vcc, s16, v11
	v_cndmask_b32_e32 v11, v1, v0, vcc
	v_cvt_f64_f32_e32 v[0:1], v14
	v_lshrrev_b32_e32 v12, 16, v12
	v_and_or_b32 v11, v12, s10, v11
	v_and_b32_e32 v4, 0xffff, v4
	v_mul_f64 v[0:1], v[0:1], s[14:15]
	v_lshl_or_b32 v4, v11, 16, v4
	v_mov_b32_e32 v11, s2
	v_add_co_u32_e32 v2, vcc, s3, v2
	v_addc_co_u32_e32 v3, vcc, v3, v11, vcc
	global_store_dword v[2:3], v4, off
	v_and_or_b32 v0, v1, s18, v0
	v_cmp_ne_u32_e32 vcc, 0, v0
	v_cndmask_b32_e64 v0, 0, 1, vcc
	v_lshrrev_b32_e32 v4, 8, v1
	v_bfe_u32 v11, v1, 20, 11
	v_and_or_b32 v0, v4, s17, v0
	v_sub_u32_e32 v12, 0x3f1, v11
	v_or_b32_e32 v4, 0x1000, v0
	v_med3_i32 v12, v12, 0, 13
	v_lshrrev_b32_e32 v14, v12, v4
	v_lshlrev_b32_e32 v12, v12, v14
	v_mul_f16_sdwa v5, v5, v15 dst_sel:DWORD dst_unused:UNUSED_PAD src0_sel:DWORD src1_sel:WORD_1
	v_cmp_ne_u32_e32 vcc, v12, v4
	v_fma_f16 v5, v15, v13, -v5
	v_cndmask_b32_e64 v4, 0, 1, vcc
	v_add_u32_e32 v11, 0xfffffc10, v11
	v_cvt_f32_f16_e32 v5, v5
	v_or_b32_e32 v4, v14, v4
	v_lshl_or_b32 v12, v11, 12, v0
	v_cmp_gt_i32_e32 vcc, 1, v11
	v_cndmask_b32_e32 v4, v12, v4, vcc
	v_and_b32_e32 v12, 7, v4
	v_cmp_lt_i32_e32 vcc, 5, v12
	v_cmp_eq_u32_e64 s[0:1], 3, v12
	v_lshrrev_b32_e32 v12, 2, v4
	v_cvt_f64_f32_e32 v[4:5], v5
	s_or_b64 vcc, s[0:1], vcc
	v_addc_co_u32_e32 v12, vcc, 0, v12, vcc
	v_mul_f64 v[4:5], v[4:5], s[14:15]
	v_cmp_gt_i32_e32 vcc, 31, v11
	v_cndmask_b32_e32 v12, v6, v12, vcc
	v_cmp_ne_u32_e32 vcc, 0, v0
	v_cndmask_b32_e64 v0, 0, 1, vcc
	v_lshl_or_b32 v0, v0, 9, v6
	v_cmp_eq_u32_e32 vcc, s16, v11
	v_cndmask_b32_e32 v0, v12, v0, vcc
	v_lshrrev_b32_e32 v1, 16, v1
	v_and_or_b32 v13, v1, s10, v0
	v_and_or_b32 v0, v5, s18, v4
	v_cmp_ne_u32_e32 vcc, 0, v0
	v_cndmask_b32_e64 v0, 0, 1, vcc
	v_lshrrev_b32_e32 v1, 8, v5
	v_and_or_b32 v4, v1, s17, v0
	v_bfe_u32 v1, v5, 20, 11
	v_sub_u32_e32 v11, 0x3f1, v1
	v_or_b32_e32 v0, 0x1000, v4
	v_med3_i32 v11, v11, 0, 13
	v_lshrrev_b32_e32 v12, v11, v0
	v_lshlrev_b32_e32 v11, v11, v12
	v_cmp_ne_u32_e32 vcc, v11, v0
	v_cndmask_b32_e64 v0, 0, 1, vcc
	v_add_u32_e32 v11, 0xfffffc10, v1
	v_or_b32_e32 v0, v12, v0
	v_lshl_or_b32 v1, v11, 12, v4
	v_cmp_gt_i32_e32 vcc, 1, v11
	v_cndmask_b32_e32 v0, v1, v0, vcc
	v_and_b32_e32 v1, 7, v0
	v_cmp_lt_i32_e32 vcc, 5, v1
	v_cmp_eq_u32_e64 s[0:1], 3, v1
	v_lshrrev_b32_e32 v0, 2, v0
	s_or_b64 vcc, s[0:1], vcc
	v_addc_co_u32_e32 v12, vcc, 0, v0, vcc
	ds_read2_b32 v[0:1], v17 offset0:38 offset1:148
	v_cmp_gt_i32_e32 vcc, 31, v11
	v_cndmask_b32_e32 v12, v6, v12, vcc
	v_cmp_ne_u32_e32 vcc, 0, v4
	v_cndmask_b32_e64 v4, 0, 1, vcc
	s_waitcnt lgkmcnt(0)
	v_lshrrev_b32_e32 v14, 16, v0
	s_waitcnt vmcnt(5)
	v_mul_f16_sdwa v15, v14, v19 dst_sel:DWORD dst_unused:UNUSED_PAD src0_sel:DWORD src1_sel:WORD_1
	v_fma_f16 v15, v0, v19, v15
	v_cvt_f32_f16_e32 v15, v15
	v_lshl_or_b32 v4, v4, 9, v6
	v_cmp_eq_u32_e32 vcc, s16, v11
	v_cndmask_b32_e32 v4, v12, v4, vcc
	v_cvt_f64_f32_e32 v[11:12], v15
	v_lshrrev_b32_e32 v5, 16, v5
	v_and_or_b32 v15, v5, s10, v4
	v_add_co_u32_e32 v2, vcc, s3, v2
	v_mul_f64 v[4:5], v[11:12], s[14:15]
	v_mov_b32_e32 v12, s2
	v_and_b32_e32 v13, 0xffff, v13
	v_addc_co_u32_e32 v3, vcc, v3, v12, vcc
	v_lshl_or_b32 v11, v15, 16, v13
	global_store_dword v[2:3], v11, off
	v_mul_f16_sdwa v0, v0, v19 dst_sel:DWORD dst_unused:UNUSED_PAD src0_sel:DWORD src1_sel:WORD_1
	v_and_or_b32 v4, v5, s18, v4
	v_cmp_ne_u32_e32 vcc, 0, v4
	v_cndmask_b32_e64 v4, 0, 1, vcc
	v_lshrrev_b32_e32 v11, 8, v5
	v_bfe_u32 v12, v5, 20, 11
	v_and_or_b32 v4, v11, s17, v4
	v_sub_u32_e32 v13, 0x3f1, v12
	v_or_b32_e32 v11, 0x1000, v4
	v_med3_i32 v13, v13, 0, 13
	v_lshrrev_b32_e32 v15, v13, v11
	v_lshlrev_b32_e32 v13, v13, v15
	v_cmp_ne_u32_e32 vcc, v13, v11
	v_fma_f16 v0, v19, v14, -v0
	v_cndmask_b32_e64 v11, 0, 1, vcc
	v_add_u32_e32 v13, 0xfffffc10, v12
	v_cvt_f32_f16_e32 v0, v0
	v_or_b32_e32 v11, v15, v11
	v_lshl_or_b32 v12, v13, 12, v4
	v_cmp_gt_i32_e32 vcc, 1, v13
	v_cndmask_b32_e32 v11, v12, v11, vcc
	v_and_b32_e32 v12, 7, v11
	v_cmp_lt_i32_e32 vcc, 5, v12
	v_cmp_eq_u32_e64 s[0:1], 3, v12
	v_lshrrev_b32_e32 v14, 2, v11
	v_cvt_f64_f32_e32 v[11:12], v0
	s_or_b64 vcc, s[0:1], vcc
	v_addc_co_u32_e32 v0, vcc, 0, v14, vcc
	v_mul_f64 v[11:12], v[11:12], s[14:15]
	v_cmp_gt_i32_e32 vcc, 31, v13
	v_cndmask_b32_e32 v0, v6, v0, vcc
	v_cmp_ne_u32_e32 vcc, 0, v4
	v_cndmask_b32_e64 v4, 0, 1, vcc
	v_lshl_or_b32 v4, v4, 9, v6
	v_cmp_eq_u32_e32 vcc, s16, v13
	v_cndmask_b32_e32 v0, v0, v4, vcc
	v_lshrrev_b32_e32 v4, 16, v5
	v_and_or_b32 v0, v4, s10, v0
	v_and_or_b32 v4, v12, s18, v11
	v_cmp_ne_u32_e32 vcc, 0, v4
	v_cndmask_b32_e64 v4, 0, 1, vcc
	v_lshrrev_b32_e32 v5, 8, v12
	v_bfe_u32 v11, v12, 20, 11
	v_and_or_b32 v4, v5, s17, v4
	v_sub_u32_e32 v13, 0x3f1, v11
	v_or_b32_e32 v5, 0x1000, v4
	v_med3_i32 v13, v13, 0, 13
	v_lshrrev_b32_e32 v14, v13, v5
	v_lshlrev_b32_e32 v13, v13, v14
	v_cmp_ne_u32_e32 vcc, v13, v5
	v_cndmask_b32_e64 v5, 0, 1, vcc
	v_add_u32_e32 v11, 0xfffffc10, v11
	v_or_b32_e32 v5, v14, v5
	v_lshl_or_b32 v13, v11, 12, v4
	v_cmp_gt_i32_e32 vcc, 1, v11
	v_cndmask_b32_e32 v5, v13, v5, vcc
	v_and_b32_e32 v13, 7, v5
	v_cmp_lt_i32_e32 vcc, 5, v13
	v_cmp_eq_u32_e64 s[0:1], 3, v13
	v_lshrrev_b32_e32 v5, 2, v5
	s_or_b64 vcc, s[0:1], vcc
	v_addc_co_u32_e32 v5, vcc, 0, v5, vcc
	v_cmp_gt_i32_e32 vcc, 31, v11
	v_cndmask_b32_e32 v5, v6, v5, vcc
	v_cmp_ne_u32_e32 vcc, 0, v4
	v_cndmask_b32_e64 v4, 0, 1, vcc
	v_lshl_or_b32 v4, v4, 9, v6
	v_cmp_eq_u32_e32 vcc, s16, v11
	v_cndmask_b32_e32 v11, v5, v4, vcc
	v_lshrrev_b32_e32 v12, 16, v12
	v_and_or_b32 v11, v12, s10, v11
	global_load_dword v12, v33, s[6:7] offset:3080
	v_lshrrev_b32_e32 v13, 16, v1
	s_waitcnt vmcnt(6)
	v_mul_f16_sdwa v14, v13, v10 dst_sel:DWORD dst_unused:UNUSED_PAD src0_sel:DWORD src1_sel:WORD_1
	v_fma_f16 v14, v1, v10, v14
	v_cvt_f32_f16_e32 v14, v14
	v_and_b32_e32 v0, 0xffff, v0
	v_lshl_or_b32 v0, v11, 16, v0
	v_mov_b32_e32 v11, s2
	v_cvt_f64_f32_e32 v[4:5], v14
	v_add_co_u32_e32 v2, vcc, s3, v2
	v_addc_co_u32_e32 v3, vcc, v3, v11, vcc
	v_mul_f64 v[4:5], v[4:5], s[14:15]
	global_store_dword v[2:3], v0, off
	v_mul_f16_sdwa v1, v1, v10 dst_sel:DWORD dst_unused:UNUSED_PAD src0_sel:DWORD src1_sel:WORD_1
	v_fma_f16 v1, v10, v13, -v1
	v_cvt_f32_f16_e32 v1, v1
	v_and_or_b32 v0, v5, s18, v4
	v_cmp_ne_u32_e32 vcc, 0, v0
	v_cndmask_b32_e64 v0, 0, 1, vcc
	v_lshrrev_b32_e32 v4, 8, v5
	v_bfe_u32 v11, v5, 20, 11
	v_and_or_b32 v4, v4, s17, v0
	v_sub_u32_e32 v14, 0x3f1, v11
	v_or_b32_e32 v0, 0x1000, v4
	v_med3_i32 v14, v14, 0, 13
	v_lshrrev_b32_e32 v15, v14, v0
	v_lshlrev_b32_e32 v14, v14, v15
	v_cmp_ne_u32_e32 vcc, v14, v0
	v_cndmask_b32_e64 v0, 0, 1, vcc
	v_add_u32_e32 v11, 0xfffffc10, v11
	v_or_b32_e32 v0, v15, v0
	v_lshl_or_b32 v14, v11, 12, v4
	v_cmp_gt_i32_e32 vcc, 1, v11
	v_cndmask_b32_e32 v0, v14, v0, vcc
	v_and_b32_e32 v14, 7, v0
	v_lshrrev_b32_e32 v10, 2, v0
	v_cvt_f64_f32_e32 v[0:1], v1
	v_cmp_lt_i32_e32 vcc, 5, v14
	v_cmp_eq_u32_e64 s[0:1], 3, v14
	s_or_b64 vcc, s[0:1], vcc
	v_mul_f64 v[0:1], v[0:1], s[14:15]
	v_addc_co_u32_e32 v10, vcc, 0, v10, vcc
	v_cmp_gt_i32_e32 vcc, 31, v11
	v_cndmask_b32_e32 v10, v6, v10, vcc
	v_cmp_ne_u32_e32 vcc, 0, v4
	v_cndmask_b32_e64 v4, 0, 1, vcc
	v_lshl_or_b32 v4, v4, 9, v6
	v_cmp_eq_u32_e32 vcc, s16, v11
	v_and_or_b32 v0, v1, s18, v0
	v_cndmask_b32_e32 v4, v10, v4, vcc
	v_lshrrev_b32_e32 v5, 16, v5
	v_cmp_ne_u32_e32 vcc, 0, v0
	v_and_or_b32 v13, v5, s10, v4
	v_cndmask_b32_e64 v0, 0, 1, vcc
	v_lshrrev_b32_e32 v4, 8, v1
	v_bfe_u32 v5, v1, 20, 11
	v_and_or_b32 v0, v4, s17, v0
	v_sub_u32_e32 v10, 0x3f1, v5
	v_or_b32_e32 v4, 0x1000, v0
	v_med3_i32 v10, v10, 0, 13
	v_lshrrev_b32_e32 v11, v10, v4
	v_lshlrev_b32_e32 v10, v10, v11
	v_cmp_ne_u32_e32 vcc, v10, v4
	v_cndmask_b32_e64 v4, 0, 1, vcc
	v_add_u32_e32 v10, 0xfffffc10, v5
	v_or_b32_e32 v4, v11, v4
	v_lshl_or_b32 v5, v10, 12, v0
	v_cmp_gt_i32_e32 vcc, 1, v10
	v_cndmask_b32_e32 v4, v5, v4, vcc
	v_and_b32_e32 v5, 7, v4
	v_cmp_lt_i32_e32 vcc, 5, v5
	v_cmp_eq_u32_e64 s[0:1], 3, v5
	v_lshrrev_b32_e32 v4, 2, v4
	s_or_b64 vcc, s[0:1], vcc
	v_addc_co_u32_e32 v11, vcc, 0, v4, vcc
	ds_read2_b32 v[4:5], v7 offset0:2 offset1:112
	global_load_dword v15, v33, s[6:7] offset:3520
	global_load_dword v16, v33, s[6:7] offset:3960
	v_cmp_gt_i32_e32 vcc, 31, v10
	v_cndmask_b32_e32 v7, v6, v11, vcc
	v_cmp_ne_u32_e32 vcc, 0, v0
	s_waitcnt lgkmcnt(0)
	v_lshrrev_b32_e32 v14, 16, v4
	s_waitcnt vmcnt(3)
	v_mul_f16_sdwa v11, v14, v12 dst_sel:DWORD dst_unused:UNUSED_PAD src0_sel:DWORD src1_sel:WORD_1
	v_fma_f16 v11, v4, v12, v11
	v_cvt_f32_f16_e32 v11, v11
	v_cndmask_b32_e64 v0, 0, 1, vcc
	v_cmp_eq_u32_e32 vcc, s16, v10
	v_lshl_or_b32 v0, v0, 9, v6
	v_cvt_f64_f32_e32 v[10:11], v11
	v_cndmask_b32_e32 v0, v7, v0, vcc
	v_lshrrev_b32_e32 v1, 16, v1
	v_and_or_b32 v7, v1, s10, v0
	v_mul_f64 v[0:1], v[10:11], s[14:15]
	v_mov_b32_e32 v10, s2
	v_add_co_u32_e32 v2, vcc, s3, v2
	v_and_b32_e32 v13, 0xffff, v13
	v_addc_co_u32_e32 v3, vcc, v3, v10, vcc
	v_lshl_or_b32 v7, v7, 16, v13
	v_and_or_b32 v0, v1, s18, v0
	v_cmp_ne_u32_e32 vcc, 0, v0
	global_store_dword v[2:3], v7, off
	v_cndmask_b32_e64 v0, 0, 1, vcc
	v_lshrrev_b32_e32 v7, 8, v1
	v_bfe_u32 v10, v1, 20, 11
	v_and_or_b32 v0, v7, s17, v0
	v_sub_u32_e32 v11, 0x3f1, v10
	v_or_b32_e32 v7, 0x1000, v0
	v_med3_i32 v11, v11, 0, 13
	v_lshrrev_b32_e32 v13, v11, v7
	v_lshlrev_b32_e32 v11, v11, v13
	v_cmp_ne_u32_e32 vcc, v11, v7
	v_mul_f16_sdwa v4, v4, v12 dst_sel:DWORD dst_unused:UNUSED_PAD src0_sel:DWORD src1_sel:WORD_1
	v_cndmask_b32_e64 v7, 0, 1, vcc
	v_fma_f16 v4, v12, v14, -v4
	v_or_b32_e32 v7, v13, v7
	v_add_u32_e32 v13, 0xfffffc10, v10
	v_cvt_f32_f16_e32 v4, v4
	v_lshl_or_b32 v10, v13, 12, v0
	v_cmp_gt_i32_e32 vcc, 1, v13
	v_cndmask_b32_e32 v7, v10, v7, vcc
	v_and_b32_e32 v10, 7, v7
	v_cmp_lt_i32_e32 vcc, 5, v10
	v_cmp_eq_u32_e64 s[0:1], 3, v10
	v_cvt_f64_f32_e32 v[10:11], v4
	v_lshrrev_b32_e32 v7, 2, v7
	s_or_b64 vcc, s[0:1], vcc
	v_addc_co_u32_e32 v4, vcc, 0, v7, vcc
	v_mul_f64 v[10:11], v[10:11], s[14:15]
	v_cmp_gt_i32_e32 vcc, 31, v13
	v_cndmask_b32_e32 v4, v6, v4, vcc
	v_cmp_ne_u32_e32 vcc, 0, v0
	v_cndmask_b32_e64 v0, 0, 1, vcc
	v_lshl_or_b32 v0, v0, 9, v6
	v_cmp_eq_u32_e32 vcc, s16, v13
	v_cndmask_b32_e32 v0, v4, v0, vcc
	v_lshrrev_b32_e32 v1, 16, v1
	v_and_or_b32 v4, v1, s10, v0
	v_and_or_b32 v0, v11, s18, v10
	v_cmp_ne_u32_e32 vcc, 0, v0
	v_cndmask_b32_e64 v0, 0, 1, vcc
	v_lshrrev_b32_e32 v1, 8, v11
	v_bfe_u32 v7, v11, 20, 11
	v_and_or_b32 v0, v1, s17, v0
	v_sub_u32_e32 v10, 0x3f1, v7
	v_or_b32_e32 v1, 0x1000, v0
	v_med3_i32 v10, v10, 0, 13
	v_lshrrev_b32_e32 v12, v10, v1
	v_lshlrev_b32_e32 v10, v10, v12
	v_cmp_ne_u32_e32 vcc, v10, v1
	v_cndmask_b32_e64 v1, 0, 1, vcc
	v_add_u32_e32 v7, 0xfffffc10, v7
	v_or_b32_e32 v1, v12, v1
	v_lshl_or_b32 v10, v7, 12, v0
	v_cmp_gt_i32_e32 vcc, 1, v7
	v_cndmask_b32_e32 v1, v10, v1, vcc
	v_and_b32_e32 v10, 7, v1
	v_cmp_lt_i32_e32 vcc, 5, v10
	v_cmp_eq_u32_e64 s[0:1], 3, v10
	v_lshrrev_b32_e32 v10, 16, v5
	v_lshrrev_b32_e32 v1, 2, v1
	s_or_b64 vcc, s[0:1], vcc
	s_waitcnt vmcnt(2)
	v_mul_f16_sdwa v12, v10, v15 dst_sel:DWORD dst_unused:UNUSED_PAD src0_sel:DWORD src1_sel:WORD_1
	v_addc_co_u32_e32 v1, vcc, 0, v1, vcc
	v_fma_f16 v12, v5, v15, v12
	v_cmp_gt_i32_e32 vcc, 31, v7
	v_cvt_f32_f16_e32 v12, v12
	v_cndmask_b32_e32 v1, v6, v1, vcc
	v_cmp_ne_u32_e32 vcc, 0, v0
	v_cndmask_b32_e64 v0, 0, 1, vcc
	v_lshl_or_b32 v0, v0, 9, v6
	v_cmp_eq_u32_e32 vcc, s16, v7
	v_cndmask_b32_e32 v7, v1, v0, vcc
	v_cvt_f64_f32_e32 v[0:1], v12
	v_lshrrev_b32_e32 v11, 16, v11
	v_and_or_b32 v7, v11, s10, v7
	v_and_b32_e32 v4, 0xffff, v4
	v_mul_f64 v[0:1], v[0:1], s[14:15]
	v_lshl_or_b32 v4, v7, 16, v4
	v_mov_b32_e32 v7, s2
	v_add_co_u32_e32 v2, vcc, s3, v2
	v_addc_co_u32_e32 v3, vcc, v3, v7, vcc
	global_store_dword v[2:3], v4, off
	v_and_or_b32 v0, v1, s18, v0
	v_cmp_ne_u32_e32 vcc, 0, v0
	v_cndmask_b32_e64 v0, 0, 1, vcc
	v_lshrrev_b32_e32 v4, 8, v1
	v_bfe_u32 v7, v1, 20, 11
	v_and_or_b32 v0, v4, s17, v0
	v_sub_u32_e32 v11, 0x3f1, v7
	v_or_b32_e32 v4, 0x1000, v0
	v_med3_i32 v11, v11, 0, 13
	v_lshrrev_b32_e32 v12, v11, v4
	v_mul_f16_sdwa v5, v5, v15 dst_sel:DWORD dst_unused:UNUSED_PAD src0_sel:DWORD src1_sel:WORD_1
	v_lshlrev_b32_e32 v11, v11, v12
	v_fma_f16 v5, v15, v10, -v5
	v_cmp_ne_u32_e32 vcc, v11, v4
	v_cvt_f32_f16_e32 v5, v5
	v_cndmask_b32_e64 v4, 0, 1, vcc
	v_add_u32_e32 v7, 0xfffffc10, v7
	v_or_b32_e32 v4, v12, v4
	v_lshl_or_b32 v11, v7, 12, v0
	v_cmp_gt_i32_e32 vcc, 1, v7
	v_cndmask_b32_e32 v4, v11, v4, vcc
	v_and_b32_e32 v11, 7, v4
	v_lshrrev_b32_e32 v10, 2, v4
	v_cvt_f64_f32_e32 v[4:5], v5
	v_cmp_lt_i32_e32 vcc, 5, v11
	v_cmp_eq_u32_e64 s[0:1], 3, v11
	s_or_b64 vcc, s[0:1], vcc
	v_mul_f64 v[4:5], v[4:5], s[14:15]
	v_addc_co_u32_e32 v10, vcc, 0, v10, vcc
	v_cmp_gt_i32_e32 vcc, 31, v7
	v_cndmask_b32_e32 v10, v6, v10, vcc
	v_cmp_ne_u32_e32 vcc, 0, v0
	v_cndmask_b32_e64 v0, 0, 1, vcc
	v_lshl_or_b32 v0, v0, 9, v6
	v_cmp_eq_u32_e32 vcc, s16, v7
	v_cndmask_b32_e32 v0, v10, v0, vcc
	v_lshrrev_b32_e32 v1, 16, v1
	v_and_or_b32 v10, v1, s10, v0
	v_and_or_b32 v0, v5, s18, v4
	v_cmp_ne_u32_e32 vcc, 0, v0
	v_cndmask_b32_e64 v0, 0, 1, vcc
	v_lshrrev_b32_e32 v1, 8, v5
	v_and_or_b32 v4, v1, s17, v0
	v_bfe_u32 v1, v5, 20, 11
	v_sub_u32_e32 v7, 0x3f1, v1
	v_or_b32_e32 v0, 0x1000, v4
	v_med3_i32 v7, v7, 0, 13
	v_lshrrev_b32_e32 v11, v7, v0
	v_lshlrev_b32_e32 v7, v7, v11
	v_cmp_ne_u32_e32 vcc, v7, v0
	v_cndmask_b32_e64 v0, 0, 1, vcc
	v_add_u32_e32 v7, 0xfffffc10, v1
	v_or_b32_e32 v0, v11, v0
	v_lshl_or_b32 v1, v7, 12, v4
	v_cmp_gt_i32_e32 vcc, 1, v7
	v_cndmask_b32_e32 v0, v1, v0, vcc
	v_and_b32_e32 v1, 7, v0
	v_cmp_lt_i32_e32 vcc, 5, v1
	v_cmp_eq_u32_e64 s[0:1], 3, v1
	v_lshrrev_b32_e32 v0, 2, v0
	s_or_b64 vcc, s[0:1], vcc
	v_addc_co_u32_e32 v11, vcc, 0, v0, vcc
	v_add_u32_e32 v0, 0xe00, v33
	ds_read2_b32 v[0:1], v0 offset0:94 offset1:204
	v_cmp_gt_i32_e32 vcc, 31, v7
	v_cndmask_b32_e32 v11, v6, v11, vcc
	v_cmp_ne_u32_e32 vcc, 0, v4
	v_cndmask_b32_e64 v4, 0, 1, vcc
	s_waitcnt lgkmcnt(0)
	v_lshrrev_b32_e32 v12, 16, v0
	s_waitcnt vmcnt(2)
	v_mul_f16_sdwa v13, v12, v16 dst_sel:DWORD dst_unused:UNUSED_PAD src0_sel:DWORD src1_sel:WORD_1
	v_fma_f16 v13, v0, v16, v13
	v_cvt_f32_f16_e32 v13, v13
	v_lshl_or_b32 v4, v4, 9, v6
	v_cmp_eq_u32_e32 vcc, s16, v7
	v_cndmask_b32_e32 v4, v11, v4, vcc
	v_add_co_u32_e32 v7, vcc, s19, v8
	v_lshrrev_b32_e32 v5, 16, v5
	v_addc_co_u32_e32 v8, vcc, 0, v9, vcc
	v_and_or_b32 v11, v5, s10, v4
	v_cvt_f64_f32_e32 v[4:5], v13
	global_load_dword v13, v[7:8], off offset:304
	v_and_b32_e32 v9, 0xffff, v10
	v_mov_b32_e32 v10, s2
	v_mul_f64 v[4:5], v[4:5], s[14:15]
	v_add_co_u32_e32 v2, vcc, s3, v2
	v_addc_co_u32_e32 v3, vcc, v3, v10, vcc
	v_lshl_or_b32 v9, v11, 16, v9
	global_store_dword v[2:3], v9, off
	v_mul_f16_sdwa v0, v0, v16 dst_sel:DWORD dst_unused:UNUSED_PAD src0_sel:DWORD src1_sel:WORD_1
	v_and_or_b32 v4, v5, s18, v4
	v_cmp_ne_u32_e32 vcc, 0, v4
	v_cndmask_b32_e64 v4, 0, 1, vcc
	v_lshrrev_b32_e32 v9, 8, v5
	v_bfe_u32 v10, v5, 20, 11
	v_and_or_b32 v4, v9, s17, v4
	v_sub_u32_e32 v11, 0x3f1, v10
	v_or_b32_e32 v9, 0x1000, v4
	v_med3_i32 v11, v11, 0, 13
	v_lshrrev_b32_e32 v14, v11, v9
	v_lshlrev_b32_e32 v11, v11, v14
	v_cmp_ne_u32_e32 vcc, v11, v9
	v_fma_f16 v0, v16, v12, -v0
	v_cndmask_b32_e64 v9, 0, 1, vcc
	v_add_u32_e32 v11, 0xfffffc10, v10
	v_cvt_f32_f16_e32 v0, v0
	v_or_b32_e32 v9, v14, v9
	v_lshl_or_b32 v10, v11, 12, v4
	v_cmp_gt_i32_e32 vcc, 1, v11
	v_cndmask_b32_e32 v9, v10, v9, vcc
	v_and_b32_e32 v10, 7, v9
	v_cmp_lt_i32_e32 vcc, 5, v10
	v_cmp_eq_u32_e64 s[0:1], 3, v10
	v_lshrrev_b32_e32 v12, 2, v9
	v_cvt_f64_f32_e32 v[9:10], v0
	s_or_b64 vcc, s[0:1], vcc
	v_addc_co_u32_e32 v0, vcc, 0, v12, vcc
	v_mul_f64 v[9:10], v[9:10], s[14:15]
	v_cmp_gt_i32_e32 vcc, 31, v11
	v_cndmask_b32_e32 v0, v6, v0, vcc
	v_cmp_ne_u32_e32 vcc, 0, v4
	v_cndmask_b32_e64 v4, 0, 1, vcc
	v_lshl_or_b32 v4, v4, 9, v6
	v_cmp_eq_u32_e32 vcc, s16, v11
	v_cndmask_b32_e32 v0, v0, v4, vcc
	v_lshrrev_b32_e32 v4, 16, v5
	v_and_or_b32 v0, v4, s10, v0
	v_and_or_b32 v4, v10, s18, v9
	v_cmp_ne_u32_e32 vcc, 0, v4
	v_cndmask_b32_e64 v4, 0, 1, vcc
	v_lshrrev_b32_e32 v5, 8, v10
	v_bfe_u32 v9, v10, 20, 11
	v_and_or_b32 v4, v5, s17, v4
	v_sub_u32_e32 v11, 0x3f1, v9
	v_or_b32_e32 v5, 0x1000, v4
	v_med3_i32 v11, v11, 0, 13
	v_lshrrev_b32_e32 v12, v11, v5
	v_lshlrev_b32_e32 v11, v11, v12
	v_cmp_ne_u32_e32 vcc, v11, v5
	v_cndmask_b32_e64 v5, 0, 1, vcc
	v_or_b32_e32 v5, v12, v5
	global_load_dword v12, v[7:8], off offset:744
	v_add_u32_e32 v9, 0xfffffc10, v9
	v_lshl_or_b32 v11, v9, 12, v4
	v_cmp_gt_i32_e32 vcc, 1, v9
	v_cndmask_b32_e32 v5, v11, v5, vcc
	v_and_b32_e32 v11, 7, v5
	v_cmp_lt_i32_e32 vcc, 5, v11
	v_cmp_eq_u32_e64 s[0:1], 3, v11
	v_lshrrev_b32_e32 v11, 16, v1
	v_lshrrev_b32_e32 v5, 2, v5
	s_or_b64 vcc, s[0:1], vcc
	v_addc_co_u32_e32 v5, vcc, 0, v5, vcc
	v_cmp_gt_i32_e32 vcc, 31, v9
	v_cndmask_b32_e32 v5, v6, v5, vcc
	v_cmp_ne_u32_e32 vcc, 0, v4
	v_cndmask_b32_e64 v4, 0, 1, vcc
	s_waitcnt vmcnt(2)
	v_mul_f16_sdwa v14, v11, v13 dst_sel:DWORD dst_unused:UNUSED_PAD src0_sel:DWORD src1_sel:WORD_1
	v_fma_f16 v14, v1, v13, v14
	v_cvt_f32_f16_e32 v14, v14
	v_lshl_or_b32 v4, v4, 9, v6
	v_cmp_eq_u32_e32 vcc, s16, v9
	v_cndmask_b32_e32 v9, v5, v4, vcc
	v_cvt_f64_f32_e32 v[4:5], v14
	v_lshrrev_b32_e32 v10, 16, v10
	v_and_or_b32 v9, v10, s10, v9
	v_and_b32_e32 v0, 0xffff, v0
	v_mul_f64 v[4:5], v[4:5], s[14:15]
	v_lshl_or_b32 v0, v9, 16, v0
	v_mov_b32_e32 v9, s2
	v_add_co_u32_e32 v2, vcc, s3, v2
	v_addc_co_u32_e32 v3, vcc, v3, v9, vcc
	global_store_dword v[2:3], v0, off
	v_and_or_b32 v0, v5, s18, v4
	v_cmp_ne_u32_e32 vcc, 0, v0
	v_cndmask_b32_e64 v0, 0, 1, vcc
	v_lshrrev_b32_e32 v4, 8, v5
	v_bfe_u32 v9, v5, 20, 11
	v_and_or_b32 v4, v4, s17, v0
	v_sub_u32_e32 v10, 0x3f1, v9
	v_or_b32_e32 v0, 0x1000, v4
	v_med3_i32 v10, v10, 0, 13
	v_lshrrev_b32_e32 v14, v10, v0
	v_lshlrev_b32_e32 v10, v10, v14
	v_mul_f16_sdwa v1, v1, v13 dst_sel:DWORD dst_unused:UNUSED_PAD src0_sel:DWORD src1_sel:WORD_1
	v_cmp_ne_u32_e32 vcc, v10, v0
	v_fma_f16 v1, v13, v11, -v1
	v_cndmask_b32_e64 v0, 0, 1, vcc
	v_add_u32_e32 v9, 0xfffffc10, v9
	v_cvt_f32_f16_e32 v1, v1
	v_or_b32_e32 v0, v14, v0
	v_lshl_or_b32 v10, v9, 12, v4
	v_cmp_gt_i32_e32 vcc, 1, v9
	v_cndmask_b32_e32 v0, v10, v0, vcc
	v_and_b32_e32 v10, 7, v0
	v_cmp_lt_i32_e32 vcc, 5, v10
	v_cmp_eq_u32_e64 s[0:1], 3, v10
	v_lshrrev_b32_e32 v10, 2, v0
	v_cvt_f64_f32_e32 v[0:1], v1
	s_or_b64 vcc, s[0:1], vcc
	v_addc_co_u32_e32 v10, vcc, 0, v10, vcc
	v_mul_f64 v[0:1], v[0:1], s[14:15]
	v_cmp_gt_i32_e32 vcc, 31, v9
	v_cndmask_b32_e32 v10, v6, v10, vcc
	v_cmp_ne_u32_e32 vcc, 0, v4
	v_cndmask_b32_e64 v4, 0, 1, vcc
	v_lshl_or_b32 v4, v4, 9, v6
	v_cmp_eq_u32_e32 vcc, s16, v9
	v_cndmask_b32_e32 v4, v10, v4, vcc
	v_and_or_b32 v0, v1, s18, v0
	v_lshrrev_b32_e32 v5, 16, v5
	v_cmp_ne_u32_e32 vcc, 0, v0
	v_and_or_b32 v11, v5, s10, v4
	v_cndmask_b32_e64 v0, 0, 1, vcc
	v_lshrrev_b32_e32 v4, 8, v1
	v_bfe_u32 v5, v1, 20, 11
	v_and_or_b32 v0, v4, s17, v0
	v_sub_u32_e32 v9, 0x3f1, v5
	v_or_b32_e32 v4, 0x1000, v0
	v_med3_i32 v9, v9, 0, 13
	v_lshrrev_b32_e32 v10, v9, v4
	v_lshlrev_b32_e32 v9, v9, v10
	v_cmp_ne_u32_e32 vcc, v9, v4
	v_cndmask_b32_e64 v4, 0, 1, vcc
	v_add_u32_e32 v9, 0xfffffc10, v5
	v_or_b32_e32 v4, v10, v4
	v_lshl_or_b32 v5, v9, 12, v0
	v_cmp_gt_i32_e32 vcc, 1, v9
	v_cndmask_b32_e32 v4, v5, v4, vcc
	v_and_b32_e32 v5, 7, v4
	v_cmp_lt_i32_e32 vcc, 5, v5
	v_cmp_eq_u32_e64 s[0:1], 3, v5
	v_lshrrev_b32_e32 v4, 2, v4
	s_or_b64 vcc, s[0:1], vcc
	v_addc_co_u32_e32 v10, vcc, 0, v4, vcc
	v_add_u32_e32 v4, 0x1200, v33
	ds_read2_b32 v[4:5], v4 offset0:58 offset1:168
	v_cmp_gt_i32_e32 vcc, 31, v9
	v_cndmask_b32_e32 v10, v6, v10, vcc
	v_cmp_ne_u32_e32 vcc, 0, v0
	v_cndmask_b32_e64 v0, 0, 1, vcc
	s_waitcnt lgkmcnt(0)
	v_lshrrev_b32_e32 v13, 16, v4
	s_waitcnt vmcnt(1)
	v_mul_f16_sdwa v14, v13, v12 dst_sel:DWORD dst_unused:UNUSED_PAD src0_sel:DWORD src1_sel:WORD_1
	v_fma_f16 v14, v4, v12, v14
	v_cvt_f32_f16_e32 v14, v14
	v_lshl_or_b32 v0, v0, 9, v6
	v_cmp_eq_u32_e32 vcc, s16, v9
	v_cndmask_b32_e32 v0, v10, v0, vcc
	v_cvt_f64_f32_e32 v[9:10], v14
	v_lshrrev_b32_e32 v1, 16, v1
	v_and_or_b32 v14, v1, s10, v0
	v_add_co_u32_e32 v2, vcc, s3, v2
	v_mul_f64 v[0:1], v[9:10], s[14:15]
	v_mov_b32_e32 v10, s2
	v_and_b32_e32 v11, 0xffff, v11
	v_addc_co_u32_e32 v3, vcc, v3, v10, vcc
	v_lshl_or_b32 v9, v14, 16, v11
	global_store_dword v[2:3], v9, off
	v_mul_f16_sdwa v4, v4, v12 dst_sel:DWORD dst_unused:UNUSED_PAD src0_sel:DWORD src1_sel:WORD_1
	v_and_or_b32 v0, v1, s18, v0
	v_cmp_ne_u32_e32 vcc, 0, v0
	v_cndmask_b32_e64 v0, 0, 1, vcc
	v_lshrrev_b32_e32 v9, 8, v1
	v_bfe_u32 v10, v1, 20, 11
	v_and_or_b32 v0, v9, s17, v0
	v_sub_u32_e32 v11, 0x3f1, v10
	v_or_b32_e32 v9, 0x1000, v0
	v_med3_i32 v11, v11, 0, 13
	v_lshrrev_b32_e32 v14, v11, v9
	v_lshlrev_b32_e32 v11, v11, v14
	v_cmp_ne_u32_e32 vcc, v11, v9
	v_fma_f16 v4, v12, v13, -v4
	v_cndmask_b32_e64 v9, 0, 1, vcc
	v_add_u32_e32 v11, 0xfffffc10, v10
	v_cvt_f32_f16_e32 v4, v4
	v_or_b32_e32 v9, v14, v9
	v_lshl_or_b32 v10, v11, 12, v0
	v_cmp_gt_i32_e32 vcc, 1, v11
	v_cndmask_b32_e32 v9, v10, v9, vcc
	v_and_b32_e32 v10, 7, v9
	v_cmp_lt_i32_e32 vcc, 5, v10
	v_cmp_eq_u32_e64 s[0:1], 3, v10
	v_lshrrev_b32_e32 v12, 2, v9
	v_cvt_f64_f32_e32 v[9:10], v4
	s_or_b64 vcc, s[0:1], vcc
	v_addc_co_u32_e32 v4, vcc, 0, v12, vcc
	v_mul_f64 v[9:10], v[9:10], s[14:15]
	v_cmp_gt_i32_e32 vcc, 31, v11
	v_cndmask_b32_e32 v4, v6, v4, vcc
	v_cmp_ne_u32_e32 vcc, 0, v0
	v_cndmask_b32_e64 v0, 0, 1, vcc
	v_lshl_or_b32 v0, v0, 9, v6
	v_cmp_eq_u32_e32 vcc, s16, v11
	v_cndmask_b32_e32 v0, v4, v0, vcc
	v_lshrrev_b32_e32 v1, 16, v1
	v_and_or_b32 v0, v1, s10, v0
	v_and_or_b32 v1, v10, s18, v9
	v_cmp_ne_u32_e32 vcc, 0, v1
	v_cndmask_b32_e64 v1, 0, 1, vcc
	v_lshrrev_b32_e32 v4, 8, v10
	v_bfe_u32 v9, v10, 20, 11
	v_and_or_b32 v1, v4, s17, v1
	v_sub_u32_e32 v11, 0x3f1, v9
	v_or_b32_e32 v4, 0x1000, v1
	v_med3_i32 v11, v11, 0, 13
	v_lshrrev_b32_e32 v12, v11, v4
	v_lshlrev_b32_e32 v11, v11, v12
	v_cmp_ne_u32_e32 vcc, v11, v4
	v_cndmask_b32_e64 v4, 0, 1, vcc
	v_add_u32_e32 v9, 0xfffffc10, v9
	v_or_b32_e32 v4, v12, v4
	v_lshl_or_b32 v11, v9, 12, v1
	v_cmp_gt_i32_e32 vcc, 1, v9
	v_cndmask_b32_e32 v4, v11, v4, vcc
	v_and_b32_e32 v11, 7, v4
	v_cmp_lt_i32_e32 vcc, 5, v11
	v_cmp_eq_u32_e64 s[0:1], 3, v11
	v_lshrrev_b32_e32 v4, 2, v4
	s_or_b64 vcc, s[0:1], vcc
	v_addc_co_u32_e32 v4, vcc, 0, v4, vcc
	v_cmp_gt_i32_e32 vcc, 31, v9
	v_cndmask_b32_e32 v4, v6, v4, vcc
	v_cmp_ne_u32_e32 vcc, 0, v1
	v_cndmask_b32_e64 v1, 0, 1, vcc
	v_lshl_or_b32 v1, v1, 9, v6
	v_cmp_eq_u32_e32 vcc, s16, v9
	v_cndmask_b32_e32 v1, v4, v1, vcc
	v_lshrrev_b32_e32 v4, 16, v10
	v_and_or_b32 v1, v4, s10, v1
	v_and_b32_e32 v0, 0xffff, v0
	v_lshl_or_b32 v4, v1, 16, v0
	v_mov_b32_e32 v1, s2
	v_add_co_u32_e32 v0, vcc, s3, v2
	v_addc_co_u32_e32 v1, vcc, v3, v1, vcc
	global_store_dword v[0:1], v4, off
	global_load_dword v4, v[7:8], off offset:1184
	v_lshrrev_b32_e32 v7, 16, v5
	s_waitcnt vmcnt(0)
	v_mul_f16_sdwa v2, v7, v4 dst_sel:DWORD dst_unused:UNUSED_PAD src0_sel:DWORD src1_sel:WORD_1
	v_fma_f16 v2, v5, v4, v2
	v_cvt_f32_f16_e32 v2, v2
	v_mul_f16_sdwa v5, v5, v4 dst_sel:DWORD dst_unused:UNUSED_PAD src0_sel:DWORD src1_sel:WORD_1
	v_fma_f16 v4, v4, v7, -v5
	v_cvt_f32_f16_e32 v4, v4
	v_cvt_f64_f32_e32 v[2:3], v2
	v_cvt_f64_f32_e32 v[4:5], v4
	v_mul_f64 v[2:3], v[2:3], s[14:15]
	v_mul_f64 v[4:5], v[4:5], s[14:15]
	v_and_or_b32 v2, v3, s18, v2
	v_cmp_ne_u32_e32 vcc, 0, v2
	v_cndmask_b32_e64 v2, 0, 1, vcc
	v_lshrrev_b32_e32 v8, 8, v3
	v_bfe_u32 v9, v3, 20, 11
	v_and_or_b32 v2, v8, s17, v2
	v_sub_u32_e32 v10, 0x3f1, v9
	v_or_b32_e32 v8, 0x1000, v2
	v_med3_i32 v10, v10, 0, 13
	v_lshrrev_b32_e32 v11, v10, v8
	v_lshlrev_b32_e32 v10, v10, v11
	v_cmp_ne_u32_e32 vcc, v10, v8
	v_cndmask_b32_e64 v8, 0, 1, vcc
	v_add_u32_e32 v9, 0xfffffc10, v9
	v_or_b32_e32 v8, v11, v8
	v_lshl_or_b32 v10, v9, 12, v2
	v_cmp_gt_i32_e32 vcc, 1, v9
	v_cndmask_b32_e32 v8, v10, v8, vcc
	v_and_b32_e32 v10, 7, v8
	v_cmp_lt_i32_e32 vcc, 5, v10
	v_cmp_eq_u32_e64 s[0:1], 3, v10
	v_lshrrev_b32_e32 v7, 2, v8
	s_or_b64 vcc, s[0:1], vcc
	v_addc_co_u32_e32 v7, vcc, 0, v7, vcc
	v_cmp_gt_i32_e32 vcc, 31, v9
	v_cndmask_b32_e32 v7, v6, v7, vcc
	v_cmp_ne_u32_e32 vcc, 0, v2
	v_cndmask_b32_e64 v2, 0, 1, vcc
	v_lshl_or_b32 v2, v2, 9, v6
	v_cmp_eq_u32_e32 vcc, s16, v9
	v_cndmask_b32_e32 v2, v7, v2, vcc
	v_lshrrev_b32_e32 v3, 16, v3
	v_and_or_b32 v2, v3, s10, v2
	v_and_or_b32 v3, v5, s18, v4
	v_cmp_ne_u32_e32 vcc, 0, v3
	v_cndmask_b32_e64 v3, 0, 1, vcc
	v_lshrrev_b32_e32 v4, 8, v5
	v_bfe_u32 v7, v5, 20, 11
	v_and_or_b32 v3, v4, s17, v3
	v_sub_u32_e32 v8, 0x3f1, v7
	v_or_b32_e32 v4, 0x1000, v3
	v_med3_i32 v8, v8, 0, 13
	v_lshrrev_b32_e32 v9, v8, v4
	v_lshlrev_b32_e32 v8, v8, v9
	v_cmp_ne_u32_e32 vcc, v8, v4
	v_cndmask_b32_e64 v4, 0, 1, vcc
	v_add_u32_e32 v7, 0xfffffc10, v7
	v_or_b32_e32 v4, v9, v4
	v_lshl_or_b32 v8, v7, 12, v3
	v_cmp_gt_i32_e32 vcc, 1, v7
	v_cndmask_b32_e32 v4, v8, v4, vcc
	v_and_b32_e32 v8, 7, v4
	v_cmp_lt_i32_e32 vcc, 5, v8
	v_cmp_eq_u32_e64 s[0:1], 3, v8
	v_lshrrev_b32_e32 v4, 2, v4
	s_or_b64 vcc, s[0:1], vcc
	v_addc_co_u32_e32 v4, vcc, 0, v4, vcc
	v_cmp_gt_i32_e32 vcc, 31, v7
	v_cndmask_b32_e32 v4, v6, v4, vcc
	v_cmp_ne_u32_e32 vcc, 0, v3
	v_cndmask_b32_e64 v3, 0, 1, vcc
	v_lshl_or_b32 v3, v3, 9, v6
	v_cmp_eq_u32_e32 vcc, s16, v7
	v_cndmask_b32_e32 v3, v4, v3, vcc
	v_lshrrev_b32_e32 v4, 16, v5
	v_and_or_b32 v3, v4, s10, v3
	v_and_b32_e32 v2, 0xffff, v2
	v_lshl_or_b32 v2, v3, 16, v2
	v_mov_b32_e32 v3, s2
	v_add_co_u32_e32 v0, vcc, s3, v0
	v_addc_co_u32_e32 v1, vcc, v1, v3, vcc
	global_store_dword v[0:1], v2, off
.LBB0_23:
	s_endpgm
	.section	.rodata,"a",@progbits
	.p2align	6, 0x0
	.amdhsa_kernel bluestein_single_fwd_len1430_dim1_half_op_CI_CI
		.amdhsa_group_segment_fixed_size 5720
		.amdhsa_private_segment_fixed_size 0
		.amdhsa_kernarg_size 104
		.amdhsa_user_sgpr_count 6
		.amdhsa_user_sgpr_private_segment_buffer 1
		.amdhsa_user_sgpr_dispatch_ptr 0
		.amdhsa_user_sgpr_queue_ptr 0
		.amdhsa_user_sgpr_kernarg_segment_ptr 1
		.amdhsa_user_sgpr_dispatch_id 0
		.amdhsa_user_sgpr_flat_scratch_init 0
		.amdhsa_user_sgpr_private_segment_size 0
		.amdhsa_uses_dynamic_stack 0
		.amdhsa_system_sgpr_private_segment_wavefront_offset 0
		.amdhsa_system_sgpr_workgroup_id_x 1
		.amdhsa_system_sgpr_workgroup_id_y 0
		.amdhsa_system_sgpr_workgroup_id_z 0
		.amdhsa_system_sgpr_workgroup_info 0
		.amdhsa_system_vgpr_workitem_id 0
		.amdhsa_next_free_vgpr 105
		.amdhsa_next_free_sgpr 30
		.amdhsa_reserve_vcc 1
		.amdhsa_reserve_flat_scratch 0
		.amdhsa_float_round_mode_32 0
		.amdhsa_float_round_mode_16_64 0
		.amdhsa_float_denorm_mode_32 3
		.amdhsa_float_denorm_mode_16_64 3
		.amdhsa_dx10_clamp 1
		.amdhsa_ieee_mode 1
		.amdhsa_fp16_overflow 0
		.amdhsa_exception_fp_ieee_invalid_op 0
		.amdhsa_exception_fp_denorm_src 0
		.amdhsa_exception_fp_ieee_div_zero 0
		.amdhsa_exception_fp_ieee_overflow 0
		.amdhsa_exception_fp_ieee_underflow 0
		.amdhsa_exception_fp_ieee_inexact 0
		.amdhsa_exception_int_div_zero 0
	.end_amdhsa_kernel
	.text
.Lfunc_end0:
	.size	bluestein_single_fwd_len1430_dim1_half_op_CI_CI, .Lfunc_end0-bluestein_single_fwd_len1430_dim1_half_op_CI_CI
                                        ; -- End function
	.section	.AMDGPU.csdata,"",@progbits
; Kernel info:
; codeLenInByte = 23536
; NumSgprs: 34
; NumVgprs: 105
; ScratchSize: 0
; MemoryBound: 0
; FloatMode: 240
; IeeeMode: 1
; LDSByteSize: 5720 bytes/workgroup (compile time only)
; SGPRBlocks: 4
; VGPRBlocks: 26
; NumSGPRsForWavesPerEU: 34
; NumVGPRsForWavesPerEU: 105
; Occupancy: 2
; WaveLimiterHint : 1
; COMPUTE_PGM_RSRC2:SCRATCH_EN: 0
; COMPUTE_PGM_RSRC2:USER_SGPR: 6
; COMPUTE_PGM_RSRC2:TRAP_HANDLER: 0
; COMPUTE_PGM_RSRC2:TGID_X_EN: 1
; COMPUTE_PGM_RSRC2:TGID_Y_EN: 0
; COMPUTE_PGM_RSRC2:TGID_Z_EN: 0
; COMPUTE_PGM_RSRC2:TIDIG_COMP_CNT: 0
	.type	__hip_cuid_8f0274e617ae90ba,@object ; @__hip_cuid_8f0274e617ae90ba
	.section	.bss,"aw",@nobits
	.globl	__hip_cuid_8f0274e617ae90ba
__hip_cuid_8f0274e617ae90ba:
	.byte	0                               ; 0x0
	.size	__hip_cuid_8f0274e617ae90ba, 1

	.ident	"AMD clang version 19.0.0git (https://github.com/RadeonOpenCompute/llvm-project roc-6.4.0 25133 c7fe45cf4b819c5991fe208aaa96edf142730f1d)"
	.section	".note.GNU-stack","",@progbits
	.addrsig
	.addrsig_sym __hip_cuid_8f0274e617ae90ba
	.amdgpu_metadata
---
amdhsa.kernels:
  - .args:
      - .actual_access:  read_only
        .address_space:  global
        .offset:         0
        .size:           8
        .value_kind:     global_buffer
      - .actual_access:  read_only
        .address_space:  global
        .offset:         8
        .size:           8
        .value_kind:     global_buffer
      - .actual_access:  read_only
        .address_space:  global
        .offset:         16
        .size:           8
        .value_kind:     global_buffer
      - .actual_access:  read_only
        .address_space:  global
        .offset:         24
        .size:           8
        .value_kind:     global_buffer
      - .actual_access:  read_only
        .address_space:  global
        .offset:         32
        .size:           8
        .value_kind:     global_buffer
      - .offset:         40
        .size:           8
        .value_kind:     by_value
      - .address_space:  global
        .offset:         48
        .size:           8
        .value_kind:     global_buffer
      - .address_space:  global
        .offset:         56
        .size:           8
        .value_kind:     global_buffer
      - .address_space:  global
        .offset:         64
        .size:           8
        .value_kind:     global_buffer
      - .address_space:  global
        .offset:         72
        .size:           8
        .value_kind:     global_buffer
      - .offset:         80
        .size:           4
        .value_kind:     by_value
      - .address_space:  global
        .offset:         88
        .size:           8
        .value_kind:     global_buffer
      - .address_space:  global
        .offset:         96
        .size:           8
        .value_kind:     global_buffer
    .group_segment_fixed_size: 5720
    .kernarg_segment_align: 8
    .kernarg_segment_size: 104
    .language:       OpenCL C
    .language_version:
      - 2
      - 0
    .max_flat_workgroup_size: 143
    .name:           bluestein_single_fwd_len1430_dim1_half_op_CI_CI
    .private_segment_fixed_size: 0
    .sgpr_count:     34
    .sgpr_spill_count: 0
    .symbol:         bluestein_single_fwd_len1430_dim1_half_op_CI_CI.kd
    .uniform_work_group_size: 1
    .uses_dynamic_stack: false
    .vgpr_count:     105
    .vgpr_spill_count: 0
    .wavefront_size: 64
amdhsa.target:   amdgcn-amd-amdhsa--gfx906
amdhsa.version:
  - 1
  - 2
...

	.end_amdgpu_metadata
